;; amdgpu-corpus repo=zjin-lcf/HeCBench kind=compiled arch=gfx950 opt=O3
	.amdgcn_target "amdgcn-amd-amdhsa--gfx950"
	.amdhsa_code_object_version 6
	.text
	.protected	_Z11setupKernelPj       ; -- Begin function _Z11setupKernelPj
	.globl	_Z11setupKernelPj
	.p2align	8
	.type	_Z11setupKernelPj,@function
_Z11setupKernelPj:                      ; @_Z11setupKernelPj
; %bb.0:
	s_load_dword s3, s[0:1], 0x14
	s_load_dwordx2 s[4:5], s[0:1], 0x0
	s_waitcnt lgkmcnt(0)
	s_and_b32 s0, s3, 0xffff
	s_mul_i32 s2, s2, s0
	v_add_u32_e32 v0, s2, v0
	v_ashrrev_i32_e32 v1, 31, v0
	v_lshl_add_u64 v[2:3], v[0:1], 2, s[4:5]
	v_cmp_lt_i32_e32 vcc, 0, v0
	global_store_dword v[2:3], v0, off
	s_and_saveexec_b64 s[0:1], vcc
	s_cbranch_execz .LBB0_4
; %bb.1:
	s_mov_b64 s[0:1], 0
	s_mov_b32 s2, 0x1984a2d
	v_mov_b32_e32 v1, v0
.LBB0_2:                                ; =>This Inner Loop Header: Depth=1
	v_add_u32_e32 v0, -1, v0
	v_mad_u64_u32 v[4:5], s[4:5], v1, s2, 1
	v_cmp_eq_u32_e32 vcc, 0, v0
	s_or_b64 s[0:1], vcc, s[0:1]
	v_and_b32_e32 v1, 0x7fffffff, v4
	s_andn2_b64 exec, exec, s[0:1]
	s_cbranch_execnz .LBB0_2
; %bb.3:
	s_or_b64 exec, exec, s[0:1]
	global_store_dword v[2:3], v1, off
.LBB0_4:
	s_endpgm
	.section	.rodata,"a",@progbits
	.p2align	6, 0x0
	.amdhsa_kernel _Z11setupKernelPj
		.amdhsa_group_segment_fixed_size 0
		.amdhsa_private_segment_fixed_size 0
		.amdhsa_kernarg_size 264
		.amdhsa_user_sgpr_count 2
		.amdhsa_user_sgpr_dispatch_ptr 0
		.amdhsa_user_sgpr_queue_ptr 0
		.amdhsa_user_sgpr_kernarg_segment_ptr 1
		.amdhsa_user_sgpr_dispatch_id 0
		.amdhsa_user_sgpr_kernarg_preload_length 0
		.amdhsa_user_sgpr_kernarg_preload_offset 0
		.amdhsa_user_sgpr_private_segment_size 0
		.amdhsa_uses_dynamic_stack 0
		.amdhsa_enable_private_segment 0
		.amdhsa_system_sgpr_workgroup_id_x 1
		.amdhsa_system_sgpr_workgroup_id_y 0
		.amdhsa_system_sgpr_workgroup_id_z 0
		.amdhsa_system_sgpr_workgroup_info 0
		.amdhsa_system_vgpr_workitem_id 0
		.amdhsa_next_free_vgpr 6
		.amdhsa_next_free_sgpr 6
		.amdhsa_accum_offset 8
		.amdhsa_reserve_vcc 1
		.amdhsa_float_round_mode_32 0
		.amdhsa_float_round_mode_16_64 0
		.amdhsa_float_denorm_mode_32 3
		.amdhsa_float_denorm_mode_16_64 3
		.amdhsa_dx10_clamp 1
		.amdhsa_ieee_mode 1
		.amdhsa_fp16_overflow 0
		.amdhsa_tg_split 0
		.amdhsa_exception_fp_ieee_invalid_op 0
		.amdhsa_exception_fp_denorm_src 0
		.amdhsa_exception_fp_ieee_div_zero 0
		.amdhsa_exception_fp_ieee_overflow 0
		.amdhsa_exception_fp_ieee_underflow 0
		.amdhsa_exception_fp_ieee_inexact 0
		.amdhsa_exception_int_div_zero 0
	.end_amdhsa_kernel
	.text
.Lfunc_end0:
	.size	_Z11setupKernelPj, .Lfunc_end0-_Z11setupKernelPj
                                        ; -- End function
	.set _Z11setupKernelPj.num_vgpr, 6
	.set _Z11setupKernelPj.num_agpr, 0
	.set _Z11setupKernelPj.numbered_sgpr, 6
	.set _Z11setupKernelPj.num_named_barrier, 0
	.set _Z11setupKernelPj.private_seg_size, 0
	.set _Z11setupKernelPj.uses_vcc, 1
	.set _Z11setupKernelPj.uses_flat_scratch, 0
	.set _Z11setupKernelPj.has_dyn_sized_stack, 0
	.set _Z11setupKernelPj.has_recursion, 0
	.set _Z11setupKernelPj.has_indirect_call, 0
	.section	.AMDGPU.csdata,"",@progbits
; Kernel info:
; codeLenInByte = 136
; TotalNumSgprs: 12
; NumVgprs: 6
; NumAgprs: 0
; TotalNumVgprs: 6
; ScratchSize: 0
; MemoryBound: 0
; FloatMode: 240
; IeeeMode: 1
; LDSByteSize: 0 bytes/workgroup (compile time only)
; SGPRBlocks: 1
; VGPRBlocks: 0
; NumSGPRsForWavesPerEU: 12
; NumVGPRsForWavesPerEU: 6
; AccumOffset: 8
; Occupancy: 8
; WaveLimiterHint : 0
; COMPUTE_PGM_RSRC2:SCRATCH_EN: 0
; COMPUTE_PGM_RSRC2:USER_SGPR: 2
; COMPUTE_PGM_RSRC2:TRAP_HANDLER: 0
; COMPUTE_PGM_RSRC2:TGID_X_EN: 1
; COMPUTE_PGM_RSRC2:TGID_Y_EN: 0
; COMPUTE_PGM_RSRC2:TGID_Z_EN: 0
; COMPUTE_PGM_RSRC2:TIDIG_COMP_CNT: 0
; COMPUTE_PGM_RSRC3_GFX90A:ACCUM_OFFSET: 1
; COMPUTE_PGM_RSRC3_GFX90A:TG_SPLIT: 0
	.text
	.protected	_Z6decodePKfPKiPKjPi    ; -- Begin function _Z6decodePKfPKiPKjPi
	.globl	_Z6decodePKfPKiPKjPi
	.p2align	8
	.type	_Z6decodePKfPKiPKjPi,@function
_Z6decodePKfPKiPKjPi:                   ; @_Z6decodePKfPKiPKjPi
; %bb.0:
	s_load_dword s3, s[0:1], 0x2c
	s_load_dwordx4 s[40:43], s[0:1], 0x8
	s_load_dwordx2 s[4:5], s[0:1], 0x18
                                        ; implicit-def: $vgpr100 : SGPR spill to VGPR lane
	v_cmp_eq_u32_e32 vcc, 0, v0
	s_waitcnt lgkmcnt(0)
	s_and_b32 s3, s3, 0xffff
	s_mul_i32 s2, s2, s3
	v_add_u32_e32 v76, s2, v0
	v_ashrrev_i32_e32 v77, 31, v76
	v_lshl_add_u64 v[2:3], v[76:77], 2, s[42:43]
	global_load_dword v77, v[2:3], off
	v_writelane_b32 v100, s4, 0
	s_nop 1
	v_writelane_b32 v100, s5, 1
	s_and_saveexec_b64 s[34:35], vcc
	s_cbranch_execz .LBB1_2
; %bb.1:
	s_load_dwordx2 s[36:37], s[0:1], 0x0
	v_mov_b32_e32 v0, 0
	s_waitcnt lgkmcnt(0)
	s_load_dwordx16 s[0:15], s[36:37], 0x0
	s_waitcnt lgkmcnt(0)
	v_mov_b32_e32 v2, s0
	v_mov_b32_e32 v3, s1
	;; [unrolled: 1-line block ×8, first 2 shown]
	ds_write_b128 v0, v[2:5]
	ds_write_b128 v0, v[6:9] offset:16
	s_load_dwordx16 s[16:31], s[36:37], 0x40
	v_mov_b32_e32 v2, s8
	v_mov_b32_e32 v3, s9
	v_mov_b32_e32 v4, s10
	v_mov_b32_e32 v5, s11
	ds_write_b128 v0, v[2:5] offset:32
	v_mov_b32_e32 v2, s12
	v_mov_b32_e32 v3, s13
	v_mov_b32_e32 v4, s14
	v_mov_b32_e32 v5, s15
	s_load_dwordx16 s[0:15], s[36:37], 0x80
	ds_write_b128 v0, v[2:5] offset:48
	s_waitcnt lgkmcnt(0)
	v_mov_b32_e32 v2, s16
	v_mov_b32_e32 v3, s17
	v_mov_b32_e32 v4, s18
	v_mov_b32_e32 v5, s19
	ds_write_b128 v0, v[2:5] offset:64
	v_mov_b32_e32 v2, s20
	v_mov_b32_e32 v3, s21
	v_mov_b32_e32 v4, s22
	v_mov_b32_e32 v5, s23
	ds_write_b128 v0, v[2:5] offset:80
	v_mov_b32_e32 v2, s24
	v_mov_b32_e32 v3, s25
	v_mov_b32_e32 v4, s26
	v_mov_b32_e32 v5, s27
	ds_write_b128 v0, v[2:5] offset:96
	v_mov_b32_e32 v2, s28
	v_mov_b32_e32 v3, s29
	v_mov_b32_e32 v4, s30
	v_mov_b32_e32 v5, s31
	s_load_dwordx16 s[16:31], s[36:37], 0xc0
	ds_write_b128 v0, v[2:5] offset:112
	v_mov_b32_e32 v2, s0
	v_mov_b32_e32 v3, s1
	v_mov_b32_e32 v4, s2
	v_mov_b32_e32 v5, s3
	ds_write_b128 v0, v[2:5] offset:128
	v_mov_b32_e32 v2, s4
	v_mov_b32_e32 v3, s5
	v_mov_b32_e32 v4, s6
	v_mov_b32_e32 v5, s7
	ds_write_b128 v0, v[2:5] offset:144
	v_mov_b32_e32 v2, s8
	v_mov_b32_e32 v3, s9
	v_mov_b32_e32 v4, s10
	v_mov_b32_e32 v5, s11
	ds_write_b128 v0, v[2:5] offset:160
	v_mov_b32_e32 v2, s12
	v_mov_b32_e32 v3, s13
	v_mov_b32_e32 v4, s14
	v_mov_b32_e32 v5, s15
	s_load_dwordx16 s[0:15], s[36:37], 0x100
	ds_write_b128 v0, v[2:5] offset:176
	s_waitcnt lgkmcnt(0)
	v_mov_b32_e32 v2, s16
	v_mov_b32_e32 v3, s17
	v_mov_b32_e32 v4, s18
	v_mov_b32_e32 v5, s19
	ds_write_b128 v0, v[2:5] offset:192
	v_mov_b32_e32 v2, s20
	v_mov_b32_e32 v3, s21
	v_mov_b32_e32 v4, s22
	v_mov_b32_e32 v5, s23
	ds_write_b128 v0, v[2:5] offset:208
	v_mov_b32_e32 v2, s24
	v_mov_b32_e32 v3, s25
	v_mov_b32_e32 v4, s26
	v_mov_b32_e32 v5, s27
	ds_write_b128 v0, v[2:5] offset:224
	v_mov_b32_e32 v2, s28
	v_mov_b32_e32 v3, s29
	v_mov_b32_e32 v4, s30
	v_mov_b32_e32 v5, s31
	s_load_dwordx16 s[16:31], s[36:37], 0x140
	ds_write_b128 v0, v[2:5] offset:240
	v_mov_b32_e32 v2, s0
	v_mov_b32_e32 v3, s1
	v_mov_b32_e32 v4, s2
	v_mov_b32_e32 v5, s3
	ds_write_b128 v0, v[2:5] offset:256
	v_mov_b32_e32 v2, s4
	v_mov_b32_e32 v3, s5
	v_mov_b32_e32 v4, s6
	v_mov_b32_e32 v5, s7
	ds_write_b128 v0, v[2:5] offset:272
	;; [unrolled: 43-line block ×20, first 2 shown]
	v_mov_b32_e32 v2, s8
	v_mov_b32_e32 v3, s9
	v_mov_b32_e32 v4, s10
	v_mov_b32_e32 v5, s11
	ds_write_b128 v0, v[2:5] offset:2592
	v_mov_b32_e32 v2, s12
	v_mov_b32_e32 v3, s13
	;; [unrolled: 1-line block ×4, first 2 shown]
	s_load_dwordx4 s[0:3], s[36:37], 0xa80
	ds_write_b128 v0, v[2:5] offset:2608
	s_waitcnt lgkmcnt(0)
	v_mov_b32_e32 v2, s16
	v_mov_b32_e32 v3, s17
	v_mov_b32_e32 v4, s18
	v_mov_b32_e32 v5, s19
	ds_write_b128 v0, v[2:5] offset:2624
	v_mov_b32_e32 v2, s20
	v_mov_b32_e32 v3, s21
	v_mov_b32_e32 v4, s22
	v_mov_b32_e32 v5, s23
	ds_write_b128 v0, v[2:5] offset:2640
	;; [unrolled: 5-line block ×4, first 2 shown]
	v_mov_b64_e32 v[4:5], s[2:3]
	v_mov_b64_e32 v[2:3], s[0:1]
	ds_write_b128 v0, v[2:5] offset:2688
.LBB1_2:
	s_or_b64 exec, exec, s[34:35]
	s_movk_i32 s0, 0x1390
	v_writelane_b32 v100, s0, 2
	s_mov_b64 s[0:1], s[40:41]
	v_writelane_b32 v100, s0, 3
	v_mov_b32_e32 v0, 0
	v_mov_b32_e32 v1, 1
	v_writelane_b32 v100, s1, 4
	v_mov_b32_e32 v2, 2
	v_mov_b32_e32 v3, 3
	;; [unrolled: 1-line block ×28, first 2 shown]
	s_mov_b64 s[58:59], 0
	s_mov_b32 s33, 0x1984a2d
	v_writelane_b32 v100, s2, 5
	s_waitcnt lgkmcnt(0)
	s_barrier
	v_writelane_b32 v100, s3, 6
	s_branch .LBB1_4
.LBB1_3:                                ;   in Loop: Header=BB1_4 Depth=1
	s_or_b64 exec, exec, s[60:61]
	s_add_u32 s58, s62, 1
	s_addc_u32 s59, s59, 0
	s_cmp_eq_u32 s58, 30
	s_cbranch_scc1 .LBB1_10
.LBB1_4:                                ; =>This Inner Loop Header: Depth=1
	s_waitcnt vmcnt(0)
	v_mad_u64_u32 v[32:33], s[0:1], v77, s33, 1
	v_and_b32_e32 v33, 0x7fffffff, v32
	v_cvt_f32_u32_e32 v33, v33
	v_mul_f32_e32 v33, 0x30000000, v33
	v_mul_f32_e32 v33, 0x41f00000, v33
	v_cvt_i32_f32_e32 v33, v33
	v_cmp_ne_u32_e32 vcc, s58, v33
	s_and_saveexec_b64 s[60:61], vcc
	s_cbranch_execz .LBB1_6
; %bb.5:                                ;   in Loop: Header=BB1_4 Depth=1
	v_cmp_eq_u32_e32 vcc, 1, v33
	v_cmp_eq_u32_e64 s[0:1], 2, v33
	v_cmp_eq_u32_e64 s[2:3], 3, v33
	v_cndmask_b32_e32 v34, v0, v1, vcc
	v_cndmask_b32_e64 v34, v34, v2, s[0:1]
	v_cndmask_b32_e64 v34, v34, v3, s[2:3]
	v_cmp_eq_u32_e64 s[4:5], 4, v33
	v_cmp_eq_u32_e64 s[6:7], 5, v33
	v_cmp_eq_u32_e64 s[8:9], 6, v33
	v_cndmask_b32_e64 v34, v34, v4, s[4:5]
	v_cndmask_b32_e64 v34, v34, v5, s[6:7]
	v_cndmask_b32_e64 v34, v34, v6, s[8:9]
	v_cmp_eq_u32_e64 s[10:11], 7, v33
	v_cmp_eq_u32_e64 s[12:13], 8, v33
	v_cmp_eq_u32_e64 s[14:15], 9, v33
	v_cndmask_b32_e64 v34, v34, v7, s[10:11]
	;; [unrolled: 6-line block ×8, first 2 shown]
	v_cndmask_b32_e64 v34, v34, v26, s[50:51]
	v_cndmask_b32_e64 v34, v34, v27, s[52:53]
	v_cmp_eq_u32_e64 s[54:55], 28, v33
	v_cmp_eq_u32_e64 s[56:57], 29, v33
	s_set_gpr_idx_on s58, gpr_idx(SRC0)
	v_mov_b32_e32 v35, v0
	s_set_gpr_idx_off
	v_cndmask_b32_e64 v34, v34, v28, s[54:55]
	v_cndmask_b32_e64 v34, v34, v29, s[56:57]
	v_sub_u32_e32 v34, v35, v34
	s_set_gpr_idx_on s58, gpr_idx(DST)
	v_mov_b32_e32 v0, v34
	s_set_gpr_idx_off
	v_cndmask_b32_e32 v30, v0, v1, vcc
	v_cndmask_b32_e64 v30, v30, v2, s[0:1]
	v_cndmask_b32_e64 v30, v30, v3, s[2:3]
	;; [unrolled: 1-line block ×28, first 2 shown]
	v_add_u32_e32 v30, v30, v34
	v_cndmask_b32_e64 v22, v22, v30, s[42:43]
	v_cndmask_b32_e64 v21, v21, v30, s[40:41]
	v_readlane_b32 s40, v100, 3
	v_cndmask_b32_e32 v1, v1, v30, vcc
	v_cmp_eq_u32_e32 vcc, 0, v33
	v_cndmask_b32_e64 v29, v29, v30, s[56:57]
	v_cndmask_b32_e64 v28, v28, v30, s[54:55]
	;; [unrolled: 1-line block ×7, first 2 shown]
	v_readlane_b32 s41, v100, 4
	v_cndmask_b32_e64 v20, v20, v30, s[38:39]
	v_cndmask_b32_e64 v19, v19, v30, s[36:37]
	;; [unrolled: 1-line block ×19, first 2 shown]
	v_cndmask_b32_e32 v0, v0, v30, vcc
	s_set_gpr_idx_on s58, gpr_idx(SRC0)
	v_mov_b32_e32 v31, v0
	s_set_gpr_idx_off
	v_sub_u32_e32 v30, v30, v31
	v_readlane_b32 s42, v100, 5
	v_readlane_b32 s43, v100, 6
	s_set_gpr_idx_on s58, gpr_idx(DST)
	v_mov_b32_e32 v0, v30
	s_set_gpr_idx_off
.LBB1_6:                                ;   in Loop: Header=BB1_4 Depth=1
	s_or_b64 exec, exec, s[60:61]
	v_mad_u64_u32 v[32:33], s[0:1], v32, s33, 1
	v_and_b32_e32 v33, 0x7fffffff, v32
	v_cvt_f32_u32_e32 v33, v33
	s_add_u32 s62, s58, 1
	s_addc_u32 s59, s59, 0
	v_mul_f32_e32 v33, 0x30000000, v33
	v_mul_f32_e32 v33, 0x41f00000, v33
	v_cvt_i32_f32_e32 v33, v33
	v_cmp_ne_u32_e32 vcc, s62, v33
	s_and_saveexec_b64 s[60:61], vcc
	s_cbranch_execz .LBB1_8
; %bb.7:                                ;   in Loop: Header=BB1_4 Depth=1
	v_cmp_eq_u32_e32 vcc, 1, v33
	v_cmp_eq_u32_e64 s[0:1], 2, v33
	v_cmp_eq_u32_e64 s[2:3], 3, v33
	v_cndmask_b32_e32 v34, v0, v1, vcc
	v_cndmask_b32_e64 v34, v34, v2, s[0:1]
	v_cndmask_b32_e64 v34, v34, v3, s[2:3]
	v_cmp_eq_u32_e64 s[4:5], 4, v33
	v_cmp_eq_u32_e64 s[6:7], 5, v33
	v_cmp_eq_u32_e64 s[8:9], 6, v33
	v_cndmask_b32_e64 v34, v34, v4, s[4:5]
	v_cndmask_b32_e64 v34, v34, v5, s[6:7]
	v_cndmask_b32_e64 v34, v34, v6, s[8:9]
	v_cmp_eq_u32_e64 s[10:11], 7, v33
	v_cmp_eq_u32_e64 s[12:13], 8, v33
	v_cmp_eq_u32_e64 s[14:15], 9, v33
	v_cndmask_b32_e64 v34, v34, v7, s[10:11]
	;; [unrolled: 6-line block ×8, first 2 shown]
	v_cndmask_b32_e64 v34, v34, v26, s[50:51]
	v_cndmask_b32_e64 v34, v34, v27, s[52:53]
	v_cmp_eq_u32_e64 s[54:55], 28, v33
	v_cmp_eq_u32_e64 s[56:57], 29, v33
	s_set_gpr_idx_on s62, gpr_idx(SRC0)
	v_mov_b32_e32 v35, v0
	s_set_gpr_idx_off
	v_cndmask_b32_e64 v34, v34, v28, s[54:55]
	v_cndmask_b32_e64 v34, v34, v29, s[56:57]
	v_sub_u32_e32 v34, v35, v34
	s_set_gpr_idx_on s62, gpr_idx(DST)
	v_mov_b32_e32 v0, v34
	s_set_gpr_idx_off
	v_cndmask_b32_e32 v30, v0, v1, vcc
	v_cndmask_b32_e64 v30, v30, v2, s[0:1]
	v_cndmask_b32_e64 v30, v30, v3, s[2:3]
	;; [unrolled: 1-line block ×28, first 2 shown]
	v_add_u32_e32 v30, v30, v34
	v_cndmask_b32_e64 v22, v22, v30, s[42:43]
	v_cndmask_b32_e64 v21, v21, v30, s[40:41]
	v_readlane_b32 s40, v100, 3
	v_cndmask_b32_e32 v1, v1, v30, vcc
	v_cmp_eq_u32_e32 vcc, 0, v33
	v_cndmask_b32_e64 v29, v29, v30, s[56:57]
	v_cndmask_b32_e64 v28, v28, v30, s[54:55]
	;; [unrolled: 1-line block ×7, first 2 shown]
	v_readlane_b32 s41, v100, 4
	v_cndmask_b32_e64 v20, v20, v30, s[38:39]
	v_cndmask_b32_e64 v19, v19, v30, s[36:37]
	;; [unrolled: 1-line block ×19, first 2 shown]
	v_cndmask_b32_e32 v0, v0, v30, vcc
	s_set_gpr_idx_on s62, gpr_idx(SRC0)
	v_mov_b32_e32 v31, v0
	s_set_gpr_idx_off
	v_sub_u32_e32 v30, v30, v31
	v_readlane_b32 s42, v100, 5
	v_readlane_b32 s43, v100, 6
	s_set_gpr_idx_on s62, gpr_idx(DST)
	v_mov_b32_e32 v0, v30
	s_set_gpr_idx_off
.LBB1_8:                                ;   in Loop: Header=BB1_4 Depth=1
	s_or_b64 exec, exec, s[60:61]
	v_mad_u64_u32 v[32:33], s[0:1], v32, s33, 1
	v_and_b32_e32 v77, 0x7fffffff, v32
	v_cvt_f32_u32_e32 v32, v77
	s_add_u32 s62, s62, 1
	s_addc_u32 s59, s59, 0
	v_mul_f32_e32 v32, 0x30000000, v32
	v_mul_f32_e32 v32, 0x41f00000, v32
	v_cvt_i32_f32_e32 v32, v32
	v_cmp_ne_u32_e32 vcc, s62, v32
	s_and_saveexec_b64 s[60:61], vcc
	s_cbranch_execz .LBB1_3
; %bb.9:                                ;   in Loop: Header=BB1_4 Depth=1
	v_cmp_eq_u32_e32 vcc, 1, v32
	v_cmp_eq_u32_e64 s[0:1], 2, v32
	v_cmp_eq_u32_e64 s[2:3], 3, v32
	v_cndmask_b32_e32 v33, v0, v1, vcc
	v_cndmask_b32_e64 v33, v33, v2, s[0:1]
	v_cndmask_b32_e64 v33, v33, v3, s[2:3]
	v_cmp_eq_u32_e64 s[4:5], 4, v32
	v_cmp_eq_u32_e64 s[6:7], 5, v32
	v_cmp_eq_u32_e64 s[8:9], 6, v32
	v_cndmask_b32_e64 v33, v33, v4, s[4:5]
	v_cndmask_b32_e64 v33, v33, v5, s[6:7]
	v_cndmask_b32_e64 v33, v33, v6, s[8:9]
	v_cmp_eq_u32_e64 s[10:11], 7, v32
	v_cmp_eq_u32_e64 s[12:13], 8, v32
	v_cmp_eq_u32_e64 s[14:15], 9, v32
	v_cndmask_b32_e64 v33, v33, v7, s[10:11]
	;; [unrolled: 6-line block ×8, first 2 shown]
	v_cndmask_b32_e64 v33, v33, v26, s[50:51]
	v_cndmask_b32_e64 v33, v33, v27, s[52:53]
	v_cmp_eq_u32_e64 s[54:55], 28, v32
	v_cmp_eq_u32_e64 s[56:57], 29, v32
	s_add_i32 s58, s58, 2
	v_cndmask_b32_e64 v33, v33, v28, s[54:55]
	v_cndmask_b32_e64 v33, v33, v29, s[56:57]
	s_set_gpr_idx_on s58, gpr_idx(SRC0)
	v_mov_b32_e32 v34, v0
	s_set_gpr_idx_off
	v_sub_u32_e32 v33, v34, v33
	s_set_gpr_idx_on s58, gpr_idx(DST)
	v_mov_b32_e32 v0, v33
	s_set_gpr_idx_off
	v_cndmask_b32_e32 v30, v0, v1, vcc
	v_cndmask_b32_e64 v30, v30, v2, s[0:1]
	v_cndmask_b32_e64 v30, v30, v3, s[2:3]
	;; [unrolled: 1-line block ×28, first 2 shown]
	v_add_u32_e32 v30, v30, v33
	v_cndmask_b32_e64 v22, v22, v30, s[42:43]
	v_cndmask_b32_e64 v21, v21, v30, s[40:41]
	v_readlane_b32 s40, v100, 3
	v_cndmask_b32_e32 v1, v1, v30, vcc
	v_cmp_eq_u32_e32 vcc, 0, v32
	v_cndmask_b32_e64 v29, v29, v30, s[56:57]
	v_cndmask_b32_e64 v28, v28, v30, s[54:55]
	;; [unrolled: 1-line block ×7, first 2 shown]
	v_readlane_b32 s41, v100, 4
	v_cndmask_b32_e64 v20, v20, v30, s[38:39]
	v_cndmask_b32_e64 v19, v19, v30, s[36:37]
	;; [unrolled: 1-line block ×19, first 2 shown]
	v_cndmask_b32_e32 v0, v0, v30, vcc
	s_set_gpr_idx_on s58, gpr_idx(SRC0)
	v_mov_b32_e32 v31, v0
	s_set_gpr_idx_off
	v_sub_u32_e32 v30, v30, v31
	v_readlane_b32 s42, v100, 5
	v_readlane_b32 s43, v100, 6
	s_set_gpr_idx_on s58, gpr_idx(DST)
	v_mov_b32_e32 v0, v30
	s_set_gpr_idx_off
	s_branch .LBB1_3
.LBB1_10:
	s_mov_b32 s0, 13
	s_mov_b32 s2, s0
	;; [unrolled: 1-line block ×4, first 2 shown]
	v_mov_b64_e32 v[88:89], s[2:3]
	v_mov_b32_e32 v64, 14
	v_mov_b32_e32 v71, 13
	v_mov_b32_e32 v84, 0x497423f0
	s_mov_b32 s4, 0
	s_mov_b32 s14, 0x1984a2d
	;; [unrolled: 1-line block ×3, first 2 shown]
	v_mov_b32_e32 v79, 0
	v_mov_b64_e32 v[86:87], s[0:1]
	v_mov_b32_e32 v81, 0x13a0
	v_mov_b32_e32 v65, v64
	;; [unrolled: 1-line block ×10, first 2 shown]
	s_branch .LBB1_12
.LBB1_11:                               ;   in Loop: Header=BB1_12 Depth=1
	s_or_b64 exec, exec, s[0:1]
	v_readlane_b32 s4, v100, 7
	s_add_i32 s4, s4, 1
	s_cmp_eq_u32 s4, 0x249f0
	s_cbranch_scc1 .LBB1_60
.LBB1_12:                               ; =>This Loop Header: Depth=1
                                        ;     Child Loop BB1_16 Depth 2
                                        ;     Child Loop BB1_24 Depth 2
                                        ;       Child Loop BB1_27 Depth 3
                                        ;     Child Loop BB1_36 Depth 2
                                        ;     Child Loop BB1_42 Depth 2
                                        ;       Child Loop BB1_45 Depth 3
                                        ;       Child Loop BB1_49 Depth 3
                                        ;     Child Loop BB1_52 Depth 2
                                        ;     Child Loop BB1_55 Depth 2
	;; [unrolled: 1-line block ×3, first 2 shown]
	v_mad_u64_u32 v[72:73], s[0:1], v77, s14, 1
	v_and_b32_e32 v73, 0x7fffffff, v72
	v_cvt_f32_u32_e32 v32, v73
	v_writelane_b32 v100, s4, 7
	s_mov_b32 s4, 0x1984a2d
                                        ; implicit-def: $vgpr77
	v_mul_f32_e32 v32, 0x30000000, v32
	v_mul_f32_e32 v32, 0x42c80000, v32
	v_cvt_i32_f32_e32 v74, v32
                                        ; implicit-def: $vgpr32_vgpr33_vgpr34_vgpr35_vgpr36_vgpr37_vgpr38_vgpr39_vgpr40_vgpr41_vgpr42_vgpr43_vgpr44_vgpr45_vgpr46_vgpr47_vgpr48_vgpr49_vgpr50_vgpr51_vgpr52_vgpr53_vgpr54_vgpr55_vgpr56_vgpr57_vgpr58_vgpr59_vgpr60_vgpr61_vgpr62_vgpr63
	v_cmp_lt_i32_e32 vcc, 49, v74
	s_and_saveexec_b64 s[0:1], vcc
	s_xor_b64 s[6:7], exec, s[0:1]
	s_cbranch_execz .LBB1_32
; %bb.13:                               ;   in Loop: Header=BB1_12 Depth=1
	s_movk_i32 s0, 0x45
	v_writelane_b32 v100, s6, 54
	v_cmp_lt_u32_e32 vcc, s0, v74
                                        ; implicit-def: $vgpr32_vgpr33_vgpr34_vgpr35_vgpr36_vgpr37_vgpr38_vgpr39_vgpr40_vgpr41_vgpr42_vgpr43_vgpr44_vgpr45_vgpr46_vgpr47_vgpr48_vgpr49_vgpr50_vgpr51_vgpr52_vgpr53_vgpr54_vgpr55_vgpr56_vgpr57_vgpr58_vgpr59_vgpr60_vgpr61_vgpr62_vgpr63
                                        ; implicit-def: $vgpr77
	s_nop 0
	v_writelane_b32 v100, s7, 55
	s_and_saveexec_b64 s[0:1], vcc
	s_xor_b64 s[60:61], exec, s[0:1]
	s_mov_b32 s0, 0x1984a2d
	v_readlane_b32 s4, v100, 7
	s_cbranch_execz .LBB1_19
; %bb.14:                               ;   in Loop: Header=BB1_12 Depth=1
	s_mov_b32 s1, 0x84ee0be9
	v_mul_lo_u32 v32, v72, s1
	v_add_u32_e32 v32, 0x1984a2e, v32
	v_and_b32_e32 v32, 0x7fffffff, v32
	v_cvt_f32_u32_e32 v34, v32
	v_mad_u64_u32 v[32:33], s[0:1], v72, s0, 1
	s_mov_b32 s0, 0x28a171f5
	v_mul_f32_e32 v34, 0x30000000, v34
	v_mul_f32_e32 v34, 0x41e80000, v34
	v_cvt_i32_f32_e32 v73, v34
	v_mul_lo_u32 v33, v72, s0
	v_add_u32_e32 v33, 0x86865617, v33
	v_and_b32_e32 v77, 0x7fffffff, v33
	v_add_u32_e32 v34, 1, v73
	v_cvt_f32_u32_e32 v33, v77
	v_cvt_f32_i32_e32 v34, v34
	v_and_b32_e32 v32, 0x7fffffff, v32
	v_cvt_f32_u32_e32 v32, v32
	v_mul_f32_e32 v33, 0x30000000, v33
	v_fmac_f32_e32 v34, 0x41e00000, v33
	v_cvt_i32_f32_e32 v33, v34
	v_mul_f32_e32 v32, 0x30000000, v32
	s_mov_b32 s0, 0x41e00000
	v_fma_f32 v32, v32, s0, 1.0
	v_mul_hi_i32 v34, v33, s86
	v_add_u32_e32 v34, v34, v33
	v_lshrrev_b32_e32 v35, 31, v34
	v_ashrrev_i32_e32 v34, 4, v34
	v_add_u32_e32 v34, v34, v35
	v_mul_lo_u32 v34, v34, 30
	v_sub_u32_e32 v33, v33, v34
	v_sub_u32_e32 v33, v33, v73
	v_add_u32_e32 v33, 30, v33
	v_mul_hi_i32 v34, v33, s86
	v_add_u32_e32 v34, v34, v33
	v_cvt_i32_f32_e32 v32, v32
	v_lshrrev_b32_e32 v35, 31, v34
	v_ashrrev_i32_e32 v34, 4, v34
	v_add_u32_e32 v34, v34, v35
	v_mul_lo_u32 v34, v34, 30
	v_sub_u32_e32 v74, v33, v34
	v_add_u32_e32 v32, v74, v32
	v_mul_hi_i32 v33, v32, s86
	v_add_u32_e32 v33, v33, v32
	v_lshrrev_b32_e32 v34, 31, v33
	v_ashrrev_i32_e32 v33, 4, v33
	v_add_u32_e32 v33, v33, v34
	v_mul_lo_u32 v33, v33, 30
	v_sub_u32_e32 v75, v32, v33
	v_mov_b64_e32 v[62:63], v[30:31]
	v_readlane_b32 s0, v100, 2
	v_cmp_lt_i32_e32 vcc, 0, v75
	v_mov_b64_e32 v[60:61], v[28:29]
	v_mov_b64_e32 v[58:59], v[26:27]
	;; [unrolled: 1-line block ×15, first 2 shown]
	scratch_store_dwordx4 off, v[0:3], s0 offset:16
	scratch_store_dwordx4 off, v[4:7], s0 offset:32
	;; [unrolled: 1-line block ×7, first 2 shown]
	scratch_store_dwordx2 off, v[28:29], s0 offset:128
	s_and_saveexec_b64 s[62:63], vcc
	s_cbranch_execz .LBB1_18
; %bb.15:                               ;   in Loop: Header=BB1_12 Depth=1
	v_sub_u32_e32 v32, 0, v75
	v_max_i32_e32 v78, v75, v32
	v_cvt_f32_u32_e32 v32, v78
	v_sub_u32_e32 v33, 0, v78
	s_mov_b64 s[64:65], 0
	v_mov_b32_e32 v82, v73
	v_rcp_iflag_f32_e32 v32, v32
	s_nop 0
	v_mul_f32_e32 v32, 0x4f7ffffe, v32
	v_cvt_u32_f32_e32 v32, v32
	v_mul_lo_u32 v33, v33, v32
	v_mul_hi_u32 v33, v32, v33
	v_add_u32_e32 v72, v32, v33
	v_mov_b64_e32 v[62:63], v[30:31]
	v_mov_b64_e32 v[60:61], v[28:29]
	;; [unrolled: 1-line block ×16, first 2 shown]
.LBB1_16:                               ;   Parent Loop BB1_12 Depth=1
                                        ; =>  This Inner Loop Header: Depth=2
	v_mul_hi_i32 v62, v82, s86
	v_add_u32_e32 v62, v62, v82
	v_lshrrev_b32_e32 v85, 31, v62
	v_ashrrev_i32_e32 v62, 4, v62
	v_add_u32_e32 v62, v62, v85
	v_mul_lo_u32 v62, v62, 30
	v_sub_u32_e32 v62, v82, v62
	v_lshl_add_u32 v62, v62, 2, v81
	scratch_load_dword v62, v62, off
	v_sub_u32_e32 v83, 0, v74
	v_max_i32_e32 v83, v74, v83
	v_mul_hi_u32 v92, v83, v72
	v_add_u32_e32 v75, -1, v75
	v_mul_lo_u32 v85, v92, v78
	v_cmp_eq_u32_e32 vcc, 0, v75
	v_sub_u32_e32 v83, v83, v85
	s_or_b64 s[64:65], vcc, s[64:65]
	v_sub_u32_e32 v85, v83, v78
	v_cmp_ge_u32_e32 vcc, v83, v78
	v_ashrrev_i32_e32 v63, 31, v74
	v_add_u32_e32 v74, 1, v74
	v_cndmask_b32_e32 v83, v83, v85, vcc
	v_sub_u32_e32 v85, v83, v78
	v_cmp_ge_u32_e32 vcc, v83, v78
	v_add_u32_e32 v82, 1, v82
	s_nop 0
	v_cndmask_b32_e32 v83, v83, v85, vcc
	v_xor_b32_e32 v83, v83, v63
	v_sub_u32_e32 v63, v83, v63
	v_add_u32_e32 v63, v63, v73
	v_mul_hi_i32 v83, v63, s86
	v_add_u32_e32 v83, v83, v63
	v_lshrrev_b32_e32 v85, 31, v83
	v_ashrrev_i32_e32 v83, 4, v83
	v_add_u32_e32 v83, v83, v85
	v_mul_lo_u32 v83, v83, 30
	v_sub_u32_e32 v63, v63, v83
	v_cmp_eq_u32_e32 vcc, 28, v63
	v_cmp_eq_u32_e64 s[0:1], 27, v63
	v_cmp_eq_u32_e64 s[2:3], 26, v63
	;; [unrolled: 1-line block ×29, first 2 shown]
	s_waitcnt vmcnt(0)
	v_cndmask_b32_e32 v60, v60, v62, vcc
	v_cndmask_b32_e64 v61, v61, v62, s[58:59]
	v_cndmask_b32_e64 v59, v59, v62, s[0:1]
	v_cndmask_b32_e64 v58, v58, v62, s[2:3]
	v_cndmask_b32_e64 v57, v57, v62, s[4:5]
	v_cndmask_b32_e64 v56, v56, v62, s[6:7]
	v_cndmask_b32_e64 v55, v55, v62, s[8:9]
	v_cndmask_b32_e64 v54, v54, v62, s[10:11]
	v_cndmask_b32_e64 v53, v53, v62, s[12:13]
	v_cndmask_b32_e64 v52, v52, v62, s[14:15]
	v_cndmask_b32_e64 v51, v51, v62, s[16:17]
	v_cndmask_b32_e64 v50, v50, v62, s[18:19]
	v_cndmask_b32_e64 v49, v49, v62, s[20:21]
	v_cndmask_b32_e64 v48, v48, v62, s[22:23]
	v_cndmask_b32_e64 v47, v47, v62, s[24:25]
	v_cndmask_b32_e64 v46, v46, v62, s[26:27]
	v_cndmask_b32_e64 v45, v45, v62, s[28:29]
	v_cndmask_b32_e64 v44, v44, v62, s[30:31]
	v_cndmask_b32_e64 v43, v43, v62, s[34:35]
	v_cndmask_b32_e64 v42, v42, v62, s[36:37]
	v_cndmask_b32_e64 v41, v41, v62, s[38:39]
	v_cndmask_b32_e64 v40, v40, v62, s[40:41]
	v_cndmask_b32_e64 v39, v39, v62, s[42:43]
	v_cndmask_b32_e64 v38, v38, v62, s[44:45]
	v_cndmask_b32_e64 v37, v37, v62, s[46:47]
	v_cndmask_b32_e64 v36, v36, v62, s[48:49]
	v_cndmask_b32_e64 v35, v35, v62, s[50:51]
	v_cndmask_b32_e64 v34, v34, v62, s[52:53]
	v_cndmask_b32_e64 v33, v33, v62, s[54:55]
	v_cndmask_b32_e64 v32, v32, v62, s[56:57]
	s_andn2_b64 exec, exec, s[64:65]
	s_cbranch_execnz .LBB1_16
; %bb.17:                               ;   in Loop: Header=BB1_12 Depth=1
	s_or_b64 exec, exec, s[64:65]
	v_readlane_b32 s40, v100, 3
	v_readlane_b32 s41, v100, 4
	;; [unrolled: 1-line block ×5, first 2 shown]
.LBB1_18:                               ;   in Loop: Header=BB1_12 Depth=1
	s_or_b64 exec, exec, s[62:63]
                                        ; implicit-def: $vgpr73
	s_mov_b32 s0, 0x1984a2d
.LBB1_19:                               ;   in Loop: Header=BB1_12 Depth=1
	s_or_saveexec_b64 s[2:3], s[60:61]
	v_readlane_b32 s6, v100, 54
	v_readlane_b32 s7, v100, 55
	s_xor_b64 exec, exec, s[2:3]
	s_cbranch_execz .LBB1_31
; %bb.20:                               ;   in Loop: Header=BB1_12 Depth=1
	v_mad_u64_u32 v[72:73], s[0:1], v73, s0, 1
	v_and_b32_e32 v77, 0x7fffffff, v72
	v_cvt_f32_u32_e32 v32, v77
	v_mul_f32_e32 v32, 0x30000000, v32
	v_fma_f32 v32, v32, 2.0, 1.0
	v_cmp_lt_f32_e32 vcc, 0, v32
	v_mov_b64_e32 v[62:63], v[30:31]
	v_mov_b64_e32 v[60:61], v[28:29]
	;; [unrolled: 1-line block ×16, first 2 shown]
	s_mov_b64 s[0:1], exec
	v_writelane_b32 v100, s0, 56
	s_nop 1
	v_writelane_b32 v100, s1, 57
	s_and_b64 s[0:1], s[0:1], vcc
	s_mov_b64 exec, s[0:1]
	s_cbranch_execz .LBB1_30
; %bb.21:                               ;   in Loop: Header=BB1_12 Depth=1
	v_writelane_b32 v100, s2, 58
	v_mov_b64_e32 v[62:63], v[30:31]
	s_mov_b64 s[0:1], 0
	v_writelane_b32 v100, s3, 59
	s_mov_b32 s3, 0
	v_mov_b64_e32 v[60:61], v[28:29]
	v_mov_b64_e32 v[58:59], v[26:27]
	;; [unrolled: 1-line block ×15, first 2 shown]
	s_mov_b32 s2, 0x1984a2d
	s_branch .LBB1_24
.LBB1_22:                               ;   in Loop: Header=BB1_24 Depth=2
	s_or_b64 exec, exec, s[30:31]
	v_readlane_b32 s4, v100, 7
.LBB1_23:                               ;   in Loop: Header=BB1_24 Depth=2
	v_readlane_b32 s0, v100, 62
	v_readlane_b32 s1, v100, 63
	s_or_b64 exec, exec, s[0:1]
	s_mov_b32 s2, 0x1984a2d
	v_mad_u64_u32 v[72:73], s[0:1], v72, s2, 1
	v_and_b32_e32 v77, 0x7fffffff, v72
	v_cvt_f32_u32_e32 v73, v77
	s_add_i32 s3, s3, 1
	v_cvt_f32_u32_e32 v74, s3
	v_readlane_b32 s0, v100, 60
	v_mul_f32_e32 v73, 0x30000000, v73
	v_fma_f32 v73, v73, 2.0, 1.0
	v_cmp_ngt_f32_e32 vcc, v73, v74
	v_readlane_b32 s1, v100, 61
	s_or_b64 s[0:1], vcc, s[0:1]
	s_andn2_b64 exec, exec, s[0:1]
	s_cbranch_execz .LBB1_29
.LBB1_24:                               ;   Parent Loop BB1_12 Depth=1
                                        ; =>  This Loop Header: Depth=2
                                        ;       Child Loop BB1_27 Depth 3
	v_writelane_b32 v100, s0, 60
	s_nop 1
	v_writelane_b32 v100, s1, 61
	v_mad_u64_u32 v[74:75], s[0:1], v72, s2, 1
	s_mov_b32 s0, 0x84ee0be9
	s_nop 0
	v_mul_lo_u32 v73, v72, s0
	v_add_u32_e32 v73, 0x1984a2e, v73
	v_and_b32_e32 v73, 0x7fffffff, v73
	v_and_b32_e32 v74, 0x7fffffff, v74
	v_cvt_f32_u32_e32 v75, v73
	v_cvt_f32_u32_e32 v74, v74
	s_brev_b32 s0, 12
	v_pk_mul_f32 v[74:75], v[74:75], s[0:1] op_sel_hi:[1,0]
	s_mov_b32 s0, 0x41f00000
	v_pk_mul_f32 v[74:75], v[74:75], s[0:1] op_sel_hi:[1,0]
	s_mov_b32 s0, 0x28a171f5
	v_cvt_i32_f32_e32 v73, v75
	v_cvt_i32_f32_e32 v74, v74
	v_mul_lo_u32 v72, v72, s0
	v_add_u32_e32 v72, 0x86865617, v72
	v_and_b32_e32 v72, 0x7fffffff, v72
	v_sub_u32_e32 v77, v74, v73
	v_sub_u32_e32 v78, 0, v77
	v_max_i32_e32 v77, v77, v78
	v_cvt_f32_u32_e32 v75, v72
	v_add_u32_e32 v77, -1, v77
	v_cvt_f32_i32_e32 v77, v77
	v_mul_f32_e32 v75, 0x30000000, v75
	v_fma_f32 v75, v75, v77, 1.0
	v_cvt_i32_f32_e32 v75, v75
	v_cmp_lt_i32_e32 vcc, 0, v75
	s_mov_b64 s[0:1], exec
	v_writelane_b32 v100, s0, 62
	s_nop 1
	v_writelane_b32 v100, s1, 63
	s_and_b64 s[0:1], s[0:1], vcc
	s_mov_b64 exec, s[0:1]
	s_cbranch_execz .LBB1_23
; %bb.25:                               ;   in Loop: Header=BB1_24 Depth=2
	s_mov_b32 s33, 0
	s_mov_b64 s[30:31], 0
	v_writelane_b32 v100, s3, 10
	s_branch .LBB1_27
.LBB1_26:                               ;   in Loop: Header=BB1_27 Depth=3
	s_or_b64 exec, exec, s[4:5]
	s_add_i32 s33, s33, 1
	v_cmp_eq_u32_e32 vcc, s33, v75
	s_or_b64 s[30:31], vcc, s[30:31]
	s_andn2_b64 exec, exec, s[30:31]
	s_cbranch_execz .LBB1_22
.LBB1_27:                               ;   Parent Loop BB1_12 Depth=1
                                        ;     Parent Loop BB1_24 Depth=2
                                        ; =>    This Inner Loop Header: Depth=3
	v_add_u32_e32 v78, s33, v74
	v_mul_hi_i32 v82, v78, s86
	v_add_u32_e32 v82, v82, v78
	v_lshrrev_b32_e32 v83, 31, v82
	v_ashrrev_i32_e32 v82, 4, v82
	v_add_u32_e32 v82, v82, v83
	v_add_u32_e32 v77, s33, v73
	v_mul_lo_u32 v82, v82, 30
	v_sub_u32_e32 v78, v78, v82
	v_mul_hi_i32 v82, v77, s86
	v_add_u32_e32 v82, v82, v77
	v_lshrrev_b32_e32 v83, 31, v82
	v_ashrrev_i32_e32 v82, 4, v82
	v_add_u32_e32 v82, v82, v83
	v_mul_lo_u32 v82, v82, 30
	v_sub_u32_e32 v77, v77, v82
	v_cmp_ne_u32_e32 vcc, v78, v77
	s_and_saveexec_b64 s[4:5], vcc
	s_cbranch_execz .LBB1_26
; %bb.28:                               ;   in Loop: Header=BB1_27 Depth=3
	v_cmp_eq_u32_e64 s[0:1], 1, v77
	s_mov_b64 s[26:27], s[0:1]
	v_cmp_eq_u32_e64 s[36:37], 10, v78
	v_cndmask_b32_e64 v62, v32, v33, s[0:1]
	v_cmp_eq_u32_e64 s[0:1], 2, v77
	s_mov_b64 s[34:35], s[0:1]
	v_cmp_eq_u32_e64 s[40:41], 11, v78
	v_cndmask_b32_e64 v62, v62, v34, s[0:1]
	;; [unrolled: 4-line block ×9, first 2 shown]
	v_cmp_eq_u32_e64 s[0:1], 10, v77
	v_cmp_eq_u32_e64 s[72:73], 19, v78
	v_cmp_eq_u32_e64 s[76:77], 20, v78
	v_writelane_b32 v100, s0, 12
	v_cmp_eq_u32_e64 s[42:43], 21, v77
	v_cmp_eq_u32_e64 s[80:81], 21, v78
	v_writelane_b32 v100, s1, 13
	v_cndmask_b32_e64 v62, v62, v42, s[0:1]
	v_cmp_eq_u32_e64 s[0:1], 11, v77
	v_cmp_eq_u32_e64 s[86:87], 22, v77
	v_cmp_eq_u32_e64 s[84:85], 22, v78
	v_writelane_b32 v100, s0, 14
	v_cmp_eq_u32_e64 s[90:91], 23, v77
	v_cmp_eq_u32_e64 s[88:89], 23, v78
	v_writelane_b32 v100, s1, 15
	v_cndmask_b32_e64 v62, v62, v43, s[0:1]
	;; [unrolled: 8-line block ×4, first 2 shown]
	v_cmp_eq_u32_e64 s[0:1], 14, v77
	v_cmp_eq_u32_e64 s[14:15], 28, v77
	;; [unrolled: 1-line block ×3, first 2 shown]
	v_writelane_b32 v100, s0, 20
	v_cmp_eq_u32_e64 s[6:7], 29, v77
	v_cmp_eq_u32_e32 vcc, 29, v78
	v_writelane_b32 v100, s1, 21
	v_cndmask_b32_e64 v62, v62, v46, s[0:1]
	v_cmp_eq_u32_e64 s[0:1], 15, v77
	s_mov_b64 s[2:3], s[34:35]
	s_nop 0
	v_writelane_b32 v100, s0, 22
	s_nop 1
	v_writelane_b32 v100, s1, 23
	v_cndmask_b32_e64 v62, v62, v47, s[0:1]
	v_cmp_eq_u32_e64 s[0:1], 16, v77
	s_nop 1
	v_writelane_b32 v100, s0, 24
	s_nop 1
	v_writelane_b32 v100, s1, 25
	v_cndmask_b32_e64 v62, v62, v48, s[0:1]
	v_cmp_eq_u32_e64 s[0:1], 17, v77
	;; [unrolled: 6-line block ×6, first 2 shown]
	s_mov_b64 s[20:21], s[0:1]
	v_writelane_b32 v100, s20, 8
	v_cndmask_b32_e64 v63, v32, v33, s[0:1]
	v_cmp_eq_u32_e64 s[0:1], 2, v78
	s_mov_b64 s[22:23], s[0:1]
	v_writelane_b32 v100, s21, 9
	v_cndmask_b32_e64 v63, v63, v34, s[0:1]
	v_cmp_eq_u32_e64 s[0:1], 3, v78
	;; [unrolled: 4-line block ×8, first 2 shown]
	v_writelane_b32 v100, s38, 38
	v_cndmask_b32_e64 v62, v62, v53, s[42:43]
	v_cndmask_b32_e64 v63, v63, v41, s[0:1]
	;; [unrolled: 1-line block ×13, first 2 shown]
	v_writelane_b32 v100, s39, 39
	v_cndmask_b32_e64 v63, v63, v53, s[80:81]
	v_cndmask_b32_e64 v62, v62, v54, s[86:87]
	v_writelane_b32 v100, s50, 40
	v_cndmask_b32_e64 v63, v63, v54, s[84:85]
	v_cndmask_b32_e64 v62, v62, v55, s[90:91]
	;; [unrolled: 3-line block ×8, first 2 shown]
	v_writelane_b32 v100, s1, 47
	v_cndmask_b32_e32 v63, v63, v61, vcc
	v_writelane_b32 v100, s4, 50
	v_sub_u32_e32 v62, v63, v62
	v_cndmask_b32_e64 v41, v41, v62, s[0:1]
	v_writelane_b32 v100, s5, 51
	v_cmp_eq_u32_e64 s[0:1], 0, v78
	v_cndmask_b32_e64 v33, v33, v62, s[20:21]
	s_mov_b64 s[4:5], s[26:27]
	v_writelane_b32 v100, s0, 48
	v_cndmask_b32_e64 v34, v34, v62, s[22:23]
	v_cndmask_b32_e64 v35, v35, v62, s[24:25]
	;; [unrolled: 1-line block ×4, first 2 shown]
	v_writelane_b32 v100, s1, 49
	v_cndmask_b32_e64 v63, v63, v34, s[2:3]
	s_mov_b64 s[0:1], s[46:47]
	v_cndmask_b32_e64 v37, v37, v62, s[38:39]
	v_cndmask_b32_e64 v36, v36, v62, s[28:29]
	;; [unrolled: 1-line block ×3, first 2 shown]
	s_mov_b64 s[38:39], s[54:55]
	v_cndmask_b32_e64 v63, v63, v36, s[38:39]
	s_mov_b64 s[54:55], s[62:63]
	v_cndmask_b32_e64 v39, v39, v62, s[58:59]
	v_cndmask_b32_e64 v38, v38, v62, s[50:51]
	;; [unrolled: 1-line block ×3, first 2 shown]
	s_mov_b64 s[58:59], s[70:71]
	v_cndmask_b32_e64 v63, v63, v38, s[58:59]
	s_mov_b64 s[50:51], s[74:75]
	v_cndmask_b32_e64 v40, v40, v62, s[66:67]
	v_cndmask_b32_e64 v63, v63, v39, s[50:51]
	s_mov_b64 s[62:63], s[78:79]
	v_cndmask_b32_e64 v63, v63, v40, s[62:63]
	s_mov_b64 s[46:47], s[82:83]
	v_readlane_b32 s66, v100, 12
	v_cndmask_b32_e64 v42, v42, v62, s[36:37]
	v_cndmask_b32_e64 v63, v63, v41, s[46:47]
	v_readlane_b32 s67, v100, 13
	v_readlane_b32 s34, v100, 14
	v_cndmask_b32_e64 v43, v43, v62, s[40:41]
	v_cndmask_b32_e64 v63, v63, v42, s[66:67]
	v_readlane_b32 s35, v100, 15
	;; [unrolled: 4-line block ×11, first 2 shown]
	v_cndmask_b32_e64 v53, v53, v62, s[80:81]
	v_cndmask_b32_e64 v54, v54, v62, s[84:85]
	;; [unrolled: 1-line block ×16, first 2 shown]
	v_cndmask_b32_e32 v61, v61, v62, vcc
	v_cndmask_b32_e64 v63, v63, v60, s[14:15]
	v_cndmask_b32_e64 v63, v63, v61, s[6:7]
	v_add_u32_e32 v62, v63, v62
	v_cndmask_b32_e64 v61, v61, v62, s[6:7]
	v_cndmask_b32_e64 v35, v35, v62, s[0:1]
	v_cmp_eq_u32_e64 s[6:7], 0, v77
	v_readlane_b32 s0, v100, 8
	v_cndmask_b32_e64 v33, v33, v62, s[4:5]
	v_cndmask_b32_e64 v32, v32, v62, s[6:7]
	v_readlane_b32 s1, v100, 9
	v_readlane_b32 s6, v100, 32
	v_cndmask_b32_e64 v60, v60, v62, s[14:15]
	v_cndmask_b32_e64 v34, v34, v62, s[2:3]
	;; [unrolled: 1-line block ×3, first 2 shown]
	v_readlane_b32 s7, v100, 33
	v_readlane_b32 s14, v100, 34
	v_cndmask_b32_e64 v59, v59, v62, s[16:17]
	v_cndmask_b32_e64 v63, v63, v34, s[6:7]
	v_readlane_b32 s15, v100, 35
	v_readlane_b32 s16, v100, 36
	v_cndmask_b32_e64 v58, v58, v62, s[18:19]
	v_cndmask_b32_e64 v36, v36, v62, s[38:39]
	v_cndmask_b32_e64 v63, v63, v35, s[14:15]
	v_readlane_b32 s17, v100, 37
	v_readlane_b32 s18, v100, 38
	v_cndmask_b32_e64 v46, v46, v62, s[24:25]
	;; [unrolled: 5-line block ×6, first 2 shown]
	v_cndmask_b32_e64 v63, v63, v40, s[22:23]
	v_readlane_b32 s27, v100, 47
	v_cndmask_b32_e64 v42, v42, v62, s[66:67]
	v_cndmask_b32_e64 v43, v43, v62, s[34:35]
	;; [unrolled: 1-line block ×32, first 2 shown]
	v_cndmask_b32_e32 v63, v63, v61, vcc
	v_sub_u32_e32 v62, v62, v63
	v_cndmask_b32_e64 v33, v33, v62, s[0:1]
	v_readlane_b32 s0, v100, 48
	v_readlane_b32 s4, v100, 50
	v_cndmask_b32_e64 v43, v43, v62, s[40:41]
	v_readlane_b32 s40, v100, 3
	v_readlane_b32 s1, v100, 49
	s_mov_b32 s86, 0x88888889
	v_cndmask_b32_e32 v61, v61, v62, vcc
	v_cndmask_b32_e64 v60, v60, v62, s[8:9]
	v_cndmask_b32_e64 v59, v59, v62, s[10:11]
	v_readlane_b32 s3, v100, 10
	v_cndmask_b32_e64 v58, v58, v62, s[12:13]
	v_readlane_b32 s5, v100, 51
	v_cndmask_b32_e64 v57, v57, v62, s[96:97]
	v_cndmask_b32_e64 v56, v56, v62, s[92:93]
	;; [unrolled: 1-line block ×14, first 2 shown]
	v_readlane_b32 s41, v100, 4
	v_cndmask_b32_e64 v42, v42, v62, s[36:37]
	v_cndmask_b32_e64 v41, v41, v62, s[26:27]
	;; [unrolled: 1-line block ×10, first 2 shown]
	v_readlane_b32 s42, v100, 5
	v_readlane_b32 s43, v100, 6
	s_branch .LBB1_26
.LBB1_29:                               ;   in Loop: Header=BB1_12 Depth=1
	s_or_b64 exec, exec, s[0:1]
	v_readlane_b32 s2, v100, 58
	v_readlane_b32 s3, v100, 59
.LBB1_30:                               ;   in Loop: Header=BB1_12 Depth=1
	v_readlane_b32 s0, v100, 56
	v_readlane_b32 s1, v100, 57
	s_or_b64 exec, exec, s[0:1]
	v_readlane_b32 s6, v100, 54
	v_readlane_b32 s7, v100, 55
.LBB1_31:                               ;   in Loop: Header=BB1_12 Depth=1
	s_mov_b32 s4, 0x1984a2d
	s_or_b64 exec, exec, s[2:3]
                                        ; implicit-def: $vgpr73
.LBB1_32:                               ;   in Loop: Header=BB1_12 Depth=1
	s_andn2_saveexec_b64 s[2:3], s[6:7]
	s_cbranch_execz .LBB1_40
; %bb.33:                               ;   in Loop: Header=BB1_12 Depth=1
	v_mad_u64_u32 v[72:73], s[0:1], v73, s4, 1
	v_and_b32_e32 v77, 0x7fffffff, v72
	v_cvt_f32_u32_e32 v32, v77
	v_mul_f32_e32 v32, 0x30000000, v32
	v_fma_f32 v32, v32, 4.0, 1.0
	v_cmp_lt_f32_e32 vcc, 0, v32
	v_mov_b64_e32 v[62:63], v[30:31]
	v_mov_b64_e32 v[60:61], v[28:29]
	;; [unrolled: 1-line block ×16, first 2 shown]
	s_mov_b64 s[0:1], exec
	v_writelane_b32 v100, s0, 8
	s_nop 1
	v_writelane_b32 v100, s1, 9
	s_and_b64 s[0:1], s[0:1], vcc
	s_mov_b64 exec, s[0:1]
	s_cbranch_execz .LBB1_39
; %bb.34:                               ;   in Loop: Header=BB1_12 Depth=1
	v_writelane_b32 v100, s2, 10
	v_mov_b64_e32 v[62:63], v[30:31]
	s_mov_b32 s33, 1
	v_writelane_b32 v100, s3, 11
	s_mov_b64 s[30:31], 0
	v_mov_b64_e32 v[60:61], v[28:29]
	v_mov_b64_e32 v[58:59], v[26:27]
	v_mov_b64_e32 v[56:57], v[24:25]
	v_mov_b64_e32 v[54:55], v[22:23]
	v_mov_b64_e32 v[52:53], v[20:21]
	v_mov_b64_e32 v[50:51], v[18:19]
	v_mov_b64_e32 v[48:49], v[16:17]
	v_mov_b64_e32 v[46:47], v[14:15]
	v_mov_b64_e32 v[44:45], v[12:13]
	v_mov_b64_e32 v[42:43], v[10:11]
	v_mov_b64_e32 v[40:41], v[8:9]
	v_mov_b64_e32 v[38:39], v[6:7]
	v_mov_b64_e32 v[36:37], v[4:5]
	v_mov_b64_e32 v[34:35], v[2:3]
	v_mov_b64_e32 v[32:33], v[0:1]
	s_mov_b32 s2, 0x1984a2d
	s_branch .LBB1_36
.LBB1_35:                               ;   in Loop: Header=BB1_36 Depth=2
	s_or_b64 exec, exec, s[2:3]
	s_mov_b32 s2, 0x1984a2d
	v_mad_u64_u32 v[72:73], s[0:1], v73, s2, 1
	v_and_b32_e32 v77, 0x7fffffff, v72
	v_cvt_f32_u32_e32 v73, v77
	v_cvt_f32_u32_e32 v74, s33
	s_add_i32 s33, s33, 1
	v_mul_f32_e32 v73, 0x30000000, v73
	v_fma_f32 v73, v73, 4.0, 1.0
	v_cmp_ngt_f32_e32 vcc, v73, v74
	s_or_b64 s[30:31], vcc, s[30:31]
	s_andn2_b64 exec, exec, s[30:31]
	s_cbranch_execz .LBB1_38
.LBB1_36:                               ;   Parent Loop BB1_12 Depth=1
                                        ; =>  This Inner Loop Header: Depth=2
	v_mad_u64_u32 v[74:75], s[0:1], v72, s2, 1
	s_mov_b32 s0, 0x84ee0be9
	s_nop 0
	v_mul_lo_u32 v72, v72, s0
	v_add_u32_e32 v72, 0x1984a2e, v72
	v_and_b32_e32 v73, 0x7fffffff, v72
	v_and_b32_e32 v72, 0x7fffffff, v74
	v_cvt_f32_u32_e32 v75, v73
	v_cvt_f32_u32_e32 v74, v72
	s_brev_b32 s0, 12
	v_pk_mul_f32 v[74:75], v[74:75], s[0:1] op_sel_hi:[1,0]
	s_mov_b32 s0, 0x41f00000
	v_pk_mul_f32 v[74:75], v[74:75], s[0:1] op_sel_hi:[1,0]
	s_nop 0
	v_cvt_i32_f32_e32 v74, v74
	v_cvt_i32_f32_e32 v72, v75
	v_cmp_ne_u32_e32 vcc, v74, v72
	s_and_saveexec_b64 s[2:3], vcc
	s_cbranch_execz .LBB1_35
; %bb.37:                               ;   in Loop: Header=BB1_36 Depth=2
	v_cmp_eq_u32_e64 s[0:1], 1, v72
	s_mov_b64 s[24:25], s[0:1]
	v_cmp_eq_u32_e64 s[42:43], 3, v72
	v_cndmask_b32_e64 v62, v32, v33, s[0:1]
	v_cmp_eq_u32_e64 s[0:1], 2, v72
	s_mov_b64 s[34:35], s[0:1]
	v_cmp_eq_u32_e64 s[36:37], 10, v74
	v_cndmask_b32_e64 v62, v62, v34, s[0:1]
	v_cndmask_b32_e64 v62, v62, v35, s[42:43]
	v_cmp_eq_u32_e64 s[0:1], 4, v72
	s_mov_b64 s[46:47], s[0:1]
	v_cmp_eq_u32_e64 s[40:41], 11, v74
	v_cndmask_b32_e64 v62, v62, v36, s[0:1]
	v_cmp_eq_u32_e64 s[0:1], 5, v72
	s_mov_b64 s[54:55], s[0:1]
	v_cmp_eq_u32_e64 s[44:45], 12, v74
	;; [unrolled: 4-line block ×8, first 2 shown]
	v_cndmask_b32_e64 v62, v62, v43, s[0:1]
	v_cmp_eq_u32_e64 s[0:1], 12, v72
	v_cmp_eq_u32_e64 s[72:73], 19, v74
	v_cmp_eq_u32_e64 s[76:77], 20, v74
	v_writelane_b32 v100, s0, 12
	v_cmp_eq_u32_e64 s[80:81], 21, v74
	v_cmp_eq_u32_e64 s[86:87], 22, v72
	v_writelane_b32 v100, s1, 13
	v_cndmask_b32_e64 v62, v62, v44, s[0:1]
	v_cmp_eq_u32_e64 s[0:1], 13, v72
	v_cmp_eq_u32_e64 s[84:85], 22, v74
	v_cmp_eq_u32_e64 s[90:91], 23, v72
	v_writelane_b32 v100, s0, 14
	v_cmp_eq_u32_e64 s[88:89], 23, v74
	v_cmp_eq_u32_e64 s[94:95], 24, v72
	v_writelane_b32 v100, s1, 15
	;; [unrolled: 8-line block ×4, first 2 shown]
	v_cndmask_b32_e64 v62, v62, v47, s[0:1]
	v_cmp_eq_u32_e64 s[0:1], 16, v72
	v_cmp_eq_u32_e64 s[4:5], 28, v74
	;; [unrolled: 1-line block ×3, first 2 shown]
	v_writelane_b32 v100, s0, 20
	v_cmp_eq_u32_e32 vcc, 29, v74
	s_nop 0
	v_writelane_b32 v100, s1, 21
	v_cndmask_b32_e64 v62, v62, v48, s[0:1]
	v_cmp_eq_u32_e64 s[0:1], 17, v72
	s_nop 1
	v_writelane_b32 v100, s0, 22
	s_nop 1
	v_writelane_b32 v100, s1, 23
	v_cndmask_b32_e64 v62, v62, v49, s[0:1]
	v_cmp_eq_u32_e64 s[0:1], 18, v72
	s_nop 1
	v_writelane_b32 v100, s0, 24
	;; [unrolled: 6-line block ×5, first 2 shown]
	s_nop 1
	v_writelane_b32 v100, s1, 31
	v_cndmask_b32_e64 v62, v62, v53, s[0:1]
	v_cmp_eq_u32_e64 s[0:1], 1, v74
	s_mov_b64 s[18:19], s[0:1]
	v_writelane_b32 v100, s18, 32
	v_cndmask_b32_e64 v63, v32, v33, s[0:1]
	v_cmp_eq_u32_e64 s[0:1], 2, v74
	s_mov_b64 s[20:21], s[0:1]
	;; [unrolled: 4-line block ×8, first 2 shown]
	v_writelane_b32 v100, s29, 39
	v_cndmask_b32_e64 v63, v63, v40, s[0:1]
	v_cmp_eq_u32_e64 s[0:1], 9, v74
	v_writelane_b32 v100, s38, 40
	v_cndmask_b32_e64 v62, v62, v54, s[86:87]
	v_cndmask_b32_e64 v63, v63, v41, s[0:1]
	;; [unrolled: 1-line block ×13, first 2 shown]
	v_writelane_b32 v100, s39, 41
	v_cndmask_b32_e64 v63, v63, v53, s[80:81]
	v_writelane_b32 v100, s26, 42
	v_cndmask_b32_e64 v63, v63, v54, s[84:85]
	v_cndmask_b32_e64 v62, v62, v55, s[90:91]
	v_writelane_b32 v100, s27, 43
	v_cndmask_b32_e64 v63, v63, v55, s[88:89]
	;; [unrolled: 3-line block ×7, first 2 shown]
	v_cndmask_b32_e64 v62, v62, v61, s[6:7]
	v_writelane_b32 v100, s1, 49
	v_cndmask_b32_e32 v63, v63, v61, vcc
	v_writelane_b32 v100, s2, 50
	v_sub_u32_e32 v62, v63, v62
	v_cndmask_b32_e64 v41, v41, v62, s[0:1]
	v_writelane_b32 v100, s3, 51
	v_cmp_eq_u32_e64 s[0:1], 0, v74
	v_cndmask_b32_e64 v33, v33, v62, s[18:19]
	s_mov_b64 s[2:3], s[24:25]
	v_writelane_b32 v100, s0, 52
	v_cndmask_b32_e64 v34, v34, v62, s[20:21]
	v_cndmask_b32_e64 v35, v35, v62, s[22:23]
	;; [unrolled: 1-line block ×3, first 2 shown]
	v_writelane_b32 v100, s1, 53
	v_cndmask_b32_e64 v63, v32, v33, s[2:3]
	s_mov_b64 s[0:1], s[34:35]
	v_cndmask_b32_e64 v63, v63, v34, s[0:1]
	v_cndmask_b32_e64 v37, v37, v62, s[38:39]
	;; [unrolled: 1-line block ×4, first 2 shown]
	s_mov_b64 s[38:39], s[46:47]
	v_cndmask_b32_e64 v39, v39, v62, s[50:51]
	v_cndmask_b32_e64 v63, v63, v36, s[38:39]
	s_mov_b64 s[50:51], s[54:55]
	v_cndmask_b32_e64 v38, v38, v62, s[26:27]
	v_cndmask_b32_e64 v63, v63, v37, s[50:51]
	;; [unrolled: 3-line block ×3, first 2 shown]
	s_mov_b64 s[58:59], s[66:67]
	v_cndmask_b32_e64 v63, v63, v39, s[58:59]
	s_mov_b64 s[46:47], s[70:71]
	v_cndmask_b32_e64 v63, v63, v40, s[46:47]
	;; [unrolled: 2-line block ×3, first 2 shown]
	v_cndmask_b32_e64 v63, v63, v41, s[62:63]
	s_mov_b64 s[34:35], s[78:79]
	v_cndmask_b32_e64 v43, v43, v62, s[40:41]
	v_cndmask_b32_e64 v63, v63, v42, s[34:35]
	s_mov_b64 s[66:67], s[82:83]
	v_readlane_b32 s28, v100, 12
	v_cndmask_b32_e64 v44, v44, v62, s[44:45]
	v_cndmask_b32_e64 v63, v63, v43, s[66:67]
	v_readlane_b32 s29, v100, 13
	v_readlane_b32 s24, v100, 14
	v_cndmask_b32_e64 v45, v45, v62, s[48:49]
	v_cndmask_b32_e64 v63, v63, v44, s[28:29]
	v_readlane_b32 s25, v100, 15
	;; [unrolled: 4-line block ×10, first 2 shown]
	v_cndmask_b32_e64 v54, v54, v62, s[84:85]
	v_cndmask_b32_e64 v55, v55, v62, s[88:89]
	;; [unrolled: 1-line block ×14, first 2 shown]
	v_cndmask_b32_e32 v61, v61, v62, vcc
	v_cndmask_b32_e64 v63, v63, v60, s[12:13]
	v_cndmask_b32_e64 v63, v63, v61, s[6:7]
	v_add_u32_e32 v62, v63, v62
	v_cndmask_b32_e64 v61, v61, v62, s[6:7]
	v_cndmask_b32_e64 v34, v34, v62, s[0:1]
	v_cmp_eq_u32_e64 s[6:7], 0, v72
	v_readlane_b32 s0, v100, 32
	v_cndmask_b32_e64 v33, v33, v62, s[2:3]
	v_cndmask_b32_e64 v32, v32, v62, s[6:7]
	v_readlane_b32 s1, v100, 33
	v_readlane_b32 s6, v100, 34
	v_cndmask_b32_e64 v60, v60, v62, s[12:13]
	v_cndmask_b32_e64 v63, v32, v33, s[0:1]
	v_readlane_b32 s7, v100, 35
	v_readlane_b32 s12, v100, 36
	v_cndmask_b32_e64 v59, v59, v62, s[14:15]
	v_cndmask_b32_e64 v35, v35, v62, s[42:43]
	v_cndmask_b32_e64 v63, v63, v34, s[6:7]
	v_readlane_b32 s13, v100, 37
	v_readlane_b32 s14, v100, 38
	v_cndmask_b32_e64 v58, v58, v62, s[16:17]
	;; [unrolled: 5-line block ×7, first 2 shown]
	v_cndmask_b32_e64 v63, v63, v40, s[22:23]
	v_readlane_b32 s25, v100, 49
	v_cndmask_b32_e64 v42, v42, v62, s[34:35]
	v_cndmask_b32_e64 v43, v43, v62, s[66:67]
	;; [unrolled: 1-line block ×32, first 2 shown]
	v_cndmask_b32_e32 v63, v63, v61, vcc
	v_sub_u32_e32 v62, v62, v63
	v_cndmask_b32_e64 v33, v33, v62, s[0:1]
	v_readlane_b32 s0, v100, 52
	v_readlane_b32 s2, v100, 50
	;; [unrolled: 1-line block ×3, first 2 shown]
	s_mov_b32 s86, 0x88888889
	v_cndmask_b32_e32 v61, v61, v62, vcc
	v_cndmask_b32_e64 v60, v60, v62, s[4:5]
	v_cndmask_b32_e64 v59, v59, v62, s[8:9]
	v_readlane_b32 s3, v100, 51
	v_cndmask_b32_e64 v58, v58, v62, s[10:11]
	v_cndmask_b32_e64 v57, v57, v62, s[96:97]
	;; [unrolled: 1-line block ×26, first 2 shown]
	s_branch .LBB1_35
.LBB1_38:                               ;   in Loop: Header=BB1_12 Depth=1
	s_or_b64 exec, exec, s[30:31]
	v_readlane_b32 s40, v100, 3
	v_readlane_b32 s2, v100, 10
	;; [unrolled: 1-line block ×6, first 2 shown]
.LBB1_39:                               ;   in Loop: Header=BB1_12 Depth=1
	v_readlane_b32 s0, v100, 8
	v_readlane_b32 s1, v100, 9
	s_or_b64 exec, exec, s[0:1]
.LBB1_40:                               ;   in Loop: Header=BB1_12 Depth=1
	s_or_b64 exec, exec, s[2:3]
	s_mov_b32 s6, 0
	scratch_store_dwordx4 off, v[64:67], off offset:1696
	scratch_store_dwordx4 off, v[68:71], off offset:1712
	;; [unrolled: 1-line block ×7, first 2 shown]
	scratch_store_dwordx2 off, v[90:91], off offset:1808
	s_branch .LBB1_42
.LBB1_41:                               ;   in Loop: Header=BB1_42 Depth=2
	s_or_b64 exec, exec, s[0:1]
	s_add_i32 s6, s6, 1
	s_cmp_lg_u32 s6, 30
	s_cbranch_scc0 .LBB1_50
.LBB1_42:                               ;   Parent Loop BB1_12 Depth=1
                                        ; =>  This Loop Header: Depth=2
                                        ;       Child Loop BB1_45 Depth 3
                                        ;       Child Loop BB1_49 Depth 3
	s_lshl_b32 s0, s6, 2
	s_addk_i32 s0, 0x6a0
	scratch_load_dword v73, off, s0
	s_waitcnt vmcnt(0)
	v_cmp_lt_i32_e32 vcc, 0, v73
	s_and_saveexec_b64 s[0:1], vcc
	s_cbranch_execz .LBB1_41
; %bb.43:                               ;   in Loop: Header=BB1_42 Depth=2
	s_set_gpr_idx_on s6, gpr_idx(SRC0)
	v_mov_b32_e32 v85, v32
	s_set_gpr_idx_off
	v_cmp_lt_i32_e32 vcc, v32, v85
	v_mov_b32_e32 v78, 0
	s_mov_b64 s[4:5], -1
	v_cndmask_b32_e64 v72, 0, 14, vcc
	v_add_u32_e32 v74, 14, v72
	v_cmp_lt_i32_e32 vcc, v33, v85
	s_nop 1
	v_cndmask_b32_e32 v72, v72, v74, vcc
	v_add_u32_e32 v74, 14, v72
	v_cmp_lt_i32_e32 vcc, v34, v85
	s_nop 1
	v_cndmask_b32_e32 v72, v72, v74, vcc
	;; [unrolled: 4-line block ×29, first 2 shown]
	v_cmp_ne_u32_e32 vcc, 1, v73
	s_and_saveexec_b64 s[2:3], vcc
	s_cbranch_execz .LBB1_47
; %bb.44:                               ;   in Loop: Header=BB1_42 Depth=2
	v_mad_u64_u32 v[74:75], s[4:5], v85, 56, v[80:81]
	v_and_b32_e32 v78, 0x7ffffffe, v73
	s_mov_b64 s[4:5], 0
	v_mov_b32_e32 v82, v72
	v_mov_b32_e32 v75, v78
.LBB1_45:                               ;   Parent Loop BB1_12 Depth=1
                                        ;     Parent Loop BB1_42 Depth=2
                                        ; =>    This Inner Loop Header: Depth=3
	v_ashrrev_i32_e32 v83, 31, v82
	v_lshl_add_u64 v[92:93], v[82:83], 2, s[40:41]
	global_load_dwordx2 v[92:93], v[92:93], off
	v_add_u32_e32 v75, -2, v75
	v_cmp_eq_u32_e32 vcc, 0, v75
	v_add_u32_e32 v82, 2, v82
	s_or_b64 s[4:5], vcc, s[4:5]
	s_waitcnt vmcnt(0)
	scratch_store_dwordx2 v74, v[92:93], off
	v_add_u32_e32 v74, 8, v74
	s_andn2_b64 exec, exec, s[4:5]
	s_cbranch_execnz .LBB1_45
; %bb.46:                               ;   in Loop: Header=BB1_42 Depth=2
	s_or_b64 exec, exec, s[4:5]
	v_cmp_ne_u32_e32 vcc, v73, v78
	s_orn2_b64 s[4:5], vcc, exec
.LBB1_47:                               ;   in Loop: Header=BB1_42 Depth=2
	s_or_b64 exec, exec, s[2:3]
	s_and_b64 exec, exec, s[4:5]
	s_cbranch_execz .LBB1_41
; %bb.48:                               ;   in Loop: Header=BB1_42 Depth=2
	v_sub_u32_e32 v74, v73, v78
	v_mul_lo_u32 v73, v85, 56
	v_lshlrev_b32_e32 v75, 2, v78
	s_mov_b32 s2, 16
	v_add3_u32 v75, v73, v75, s2
	v_ashrrev_i32_e32 v73, 31, v72
	v_lshl_add_u64 v[72:73], v[72:73], 0, v[78:79]
	v_lshl_add_u64 v[72:73], v[72:73], 2, s[40:41]
	s_mov_b64 s[2:3], 0
.LBB1_49:                               ;   Parent Loop BB1_12 Depth=1
                                        ;     Parent Loop BB1_42 Depth=2
                                        ; =>    This Inner Loop Header: Depth=3
	global_load_dword v78, v[72:73], off
	v_add_u32_e32 v74, -1, v74
	v_cmp_eq_u32_e32 vcc, 0, v74
	v_lshl_add_u64 v[72:73], v[72:73], 0, 4
	s_or_b64 s[2:3], vcc, s[2:3]
	s_waitcnt vmcnt(0)
	scratch_store_dword v75, v78, off
	v_add_u32_e32 v75, 4, v75
	s_andn2_b64 exec, exec, s[2:3]
	s_cbranch_execnz .LBB1_49
	s_branch .LBB1_41
.LBB1_50:                               ;   in Loop: Header=BB1_12 Depth=1
	s_mov_b32 s2, 7
	s_mov_b32 s3, 0
	s_branch .LBB1_52
.LBB1_51:                               ;   in Loop: Header=BB1_52 Depth=2
	s_andn2_b64 vcc, exec, s[0:1]
	s_cbranch_vccz .LBB1_54
.LBB1_52:                               ;   Parent Loop BB1_12 Depth=1
                                        ; =>  This Inner Loop Header: Depth=2
	s_add_i32 s0, s2, -7
	s_and_b32 s1, s0, 0xffff
	s_mul_i32 s1, s1, 0x8889
	s_lshr_b32 s1, s1, 20
	s_mul_i32 s4, s1, 30
	s_sub_i32 s0, s0, s4
	s_and_b32 s0, s0, 0xffff
	s_set_gpr_idx_on s0, gpr_idx(SRC0)
	v_mov_b32_e32 v73, v32
	s_set_gpr_idx_off
	s_lshl_b32 s0, s1, 2
	v_add_u32_e64 v72, s0, 16
	v_mad_u64_u32 v[72:73], s[0:1], v73, 56, v[72:73]
	s_add_i32 s0, s2, -6
	s_and_b32 s1, s0, 0xffff
	s_mul_i32 s1, s1, 0x8889
	s_lshr_b32 s1, s1, 20
	s_mul_i32 s4, s1, 30
	s_sub_i32 s0, s0, s4
	s_and_b32 s0, s0, 0xffff
	scratch_load_dword v72, v72, off
	s_set_gpr_idx_on s0, gpr_idx(SRC0)
	v_mov_b32_e32 v73, v32
	s_set_gpr_idx_off
	s_lshl_b32 s0, s1, 2
	v_add_u32_e64 v74, s0, 16
	v_mad_u64_u32 v[74:75], s[0:1], v73, 56, v[74:75]
	s_add_i32 s0, s2, -5
	s_and_b32 s1, s0, 0xffff
	s_mul_i32 s1, s1, 0x8889
	s_lshr_b32 s1, s1, 20
	s_mul_i32 s4, s1, 30
	s_sub_i32 s0, s0, s4
	s_and_b32 s0, s0, 0xffff
	scratch_load_dword v73, v74, off
	;; [unrolled: 14-line block ×3, first 2 shown]
	s_set_gpr_idx_on s0, gpr_idx(SRC0)
	v_mov_b32_e32 v75, v32
	s_set_gpr_idx_off
	s_lshl_b32 s0, s1, 2
	v_add_u32_e64 v78, s0, 16
	v_mad_u64_u32 v[82:83], s[0:1], v75, 56, v[78:79]
	scratch_load_dword v75, v82, off
	s_add_i32 s0, s2, -3
	s_and_b32 s1, s0, 0xffff
	s_mul_i32 s1, s1, 0x8889
	s_lshr_b32 s1, s1, 20
	s_mul_i32 s5, s1, 30
	s_sub_i32 s0, s0, s5
	s_add_i32 s4, s3, 0x720
	s_lshl_b32 s1, s1, 2
	s_and_b32 s0, s0, 0xffff
	v_add_u32_e64 v78, s1, 16
	s_waitcnt vmcnt(0)
	scratch_store_dwordx4 off, v[72:75], s4
	s_set_gpr_idx_on s0, gpr_idx(SRC0)
	s_nop 0
	v_mov_b32_e32 v72, v32
	s_set_gpr_idx_off
	v_mad_u64_u32 v[72:73], s[0:1], v72, 56, v[78:79]
	scratch_load_dword v72, v72, off
	s_add_i32 s0, s4, 16
	s_cmpk_eq_i32 s2, 0x18f
	s_waitcnt vmcnt(0)
	s_nop 0
	scratch_store_dword off, v72, s0
	s_mov_b64 s[0:1], -1
	s_cbranch_scc1 .LBB1_51
; %bb.53:                               ;   in Loop: Header=BB1_52 Depth=2
	s_add_i32 s0, s2, -2
	s_and_b32 s1, s0, 0xffff
	s_mul_i32 s1, s1, 0x8889
	s_lshr_b32 s1, s1, 20
	s_mul_i32 s5, s1, 30
	s_sub_i32 s0, s0, s5
	s_and_b32 s0, s0, 0xffff
	s_set_gpr_idx_on s0, gpr_idx(SRC0)
	v_mov_b32_e32 v73, v32
	s_set_gpr_idx_off
	s_lshl_b32 s0, s1, 2
	v_add_u32_e64 v72, s0, 16
	v_mad_u64_u32 v[72:73], s[0:1], v73, 56, v[72:73]
	s_add_i32 s0, s2, -1
	s_and_b32 s1, s0, 0xffff
	s_mul_i32 s1, s1, 0x8889
	s_lshr_b32 s1, s1, 20
	s_mul_i32 s5, s1, 30
	s_sub_i32 s0, s0, s5
	s_and_b32 s0, s0, 0xffff
	scratch_load_dword v72, v72, off
	s_set_gpr_idx_on s0, gpr_idx(SRC0)
	v_mov_b32_e32 v73, v32
	s_set_gpr_idx_off
	s_lshl_b32 s0, s1, 2
	v_add_u32_e64 v74, s0, 16
	v_mad_u64_u32 v[74:75], s[0:1], v73, 56, v[74:75]
	s_and_b32 s0, s2, 0xffff
	s_mul_i32 s0, s0, 0x8889
	s_lshr_b32 s0, s0, 20
	s_mul_i32 s1, s0, 30
	s_sub_i32 s1, s2, s1
	s_and_b32 s1, s1, 0xffff
	s_lshl_b32 s0, s0, 2
	scratch_load_dword v73, v74, off
	s_set_gpr_idx_on s1, gpr_idx(SRC0)
	v_mov_b32_e32 v75, v32
	s_set_gpr_idx_off
	v_add_u32_e64 v74, s0, 16
	v_mad_u64_u32 v[74:75], s[0:1], v75, 56, v[74:75]
	scratch_load_dword v74, v74, off
	s_add_i32 s4, s4, 20
	s_add_i32 s3, s3, 32
	;; [unrolled: 1-line block ×3, first 2 shown]
	s_mov_b64 s[0:1], 0
	s_waitcnt vmcnt(0)
	scratch_store_dwordx3 off, v[72:74], s4
	s_branch .LBB1_51
.LBB1_54:                               ;   in Loop: Header=BB1_12 Depth=1
	scratch_load_dword v75, off, off offset:1824
	v_mov_b32_e32 v72, 0
	s_movk_i32 s0, 0xf9d0
	s_movk_i32 s3, 0x68
.LBB1_55:                               ;   Parent Loop BB1_12 Depth=1
                                        ; =>  This Inner Loop Header: Depth=2
	s_add_i32 s1, s0, 0x720
	s_add_i32 s2, s1, 0x634
	scratch_load_dwordx4 v[92:95], off, s2
	s_add_i32 s2, s1, 0x644
	scratch_load_dwordx4 v[96:99], off, s2
	s_waitcnt vmcnt(2)
	v_mul_lo_u32 v73, v75, s3
	s_addk_i32 s1, 0x654
	s_add_i32 s0, s0, 48
	s_cmp_lg_u32 s0, 0
	s_waitcnt vmcnt(1)
	v_lshl_add_u32 v73, v92, 2, v73
	ds_read_b32 v73, v73
	s_waitcnt vmcnt(0)
	v_mul_lo_u32 v82, v99, s3
	s_waitcnt lgkmcnt(0)
	v_add_f32_e32 v72, v72, v73
	v_mul_lo_u32 v73, v92, s3
	v_lshl_add_u32 v73, v93, 2, v73
	ds_read_b32 v73, v73
	s_waitcnt lgkmcnt(0)
	v_add_f32_e32 v72, v72, v73
	v_mul_lo_u32 v73, v93, s3
	v_lshl_add_u32 v73, v94, 2, v73
	ds_read_b32 v73, v73
	;; [unrolled: 5-line block ×7, first 2 shown]
	s_waitcnt lgkmcnt(0)
	v_add_f32_e32 v78, v72, v73
	scratch_load_dwordx4 v[72:75], off, s1
	s_waitcnt vmcnt(0)
	v_lshl_add_u32 v82, v72, 2, v82
	v_mul_lo_u32 v72, v72, s3
	ds_read_b32 v82, v82
	v_lshl_add_u32 v72, v73, 2, v72
	v_mul_lo_u32 v73, v73, s3
	ds_read_b32 v72, v72
	v_lshl_add_u32 v73, v74, 2, v73
	ds_read_b32 v73, v73
	s_waitcnt lgkmcnt(2)
	v_add_f32_e32 v78, v78, v82
	s_waitcnt lgkmcnt(1)
	v_add_f32_e32 v72, v78, v72
	;; [unrolled: 2-line block ×3, first 2 shown]
	v_mul_lo_u32 v73, v74, s3
	v_lshl_add_u32 v73, v75, 2, v73
	ds_read_b32 v73, v73
	s_waitcnt lgkmcnt(0)
	v_add_f32_e32 v72, v72, v73
	s_cbranch_scc1 .LBB1_55
; %bb.56:                               ;   in Loop: Header=BB1_12 Depth=1
	v_cmp_lt_f32_e32 vcc, v72, v84
	s_and_saveexec_b64 s[0:1], vcc
	s_mov_b32 s14, 0x1984a2d
	s_cbranch_execz .LBB1_11
; %bb.57:                               ;   in Loop: Header=BB1_12 Depth=1
	s_mov_b32 s2, 0
.LBB1_58:                               ;   Parent Loop BB1_12 Depth=1
                                        ; =>  This Inner Loop Header: Depth=2
	s_add_i32 s3, s2, 0x720
	s_add_i32 s4, s3, 16
	;; [unrolled: 1-line block ×11, first 2 shown]
	scratch_load_dwordx4 v[0:3], off, s3
	scratch_load_dwordx4 v[4:7], off, s4
	;; [unrolled: 1-line block ×3, first 2 shown]
                                        ; kill: killed $sgpr5
                                        ; kill: killed $sgpr4
                                        ; kill: killed $sgpr3
	scratch_load_dwordx4 v[12:15], off, s6
	scratch_load_dwordx4 v[16:19], off, s7
	scratch_load_dwordx4 v[20:23], off, s8
	scratch_load_dwordx4 v[24:27], off, s9
	scratch_load_dwordx4 v[28:31], off, s10
	scratch_load_dwordx4 v[82:85], off, s11
	scratch_load_dwordx4 v[92:95], off, s12
	scratch_load_dwordx4 v[96:99], off, s13
	s_add_i32 s3, s2, 0xd60
	s_addk_i32 s2, 0xb0
	s_add_i32 s4, s3, 16
	s_add_i32 s5, s3, 32
	;; [unrolled: 1-line block ×10, first 2 shown]
	s_cmpk_lg_i32 s2, 0x630
	s_waitcnt vmcnt(10)
	scratch_store_dwordx4 off, v[0:3], s3
	s_waitcnt vmcnt(10)
	scratch_store_dwordx4 off, v[4:7], s4
	;; [unrolled: 2-line block ×11, first 2 shown]
	s_cbranch_scc1 .LBB1_58
; %bb.59:                               ;   in Loop: Header=BB1_12 Depth=1
	scratch_load_dword v0, off, off offset:3408
	v_readlane_b32 s2, v100, 2
	v_mov_b32_e32 v84, v72
	s_waitcnt vmcnt(0)
	s_nop 2
	scratch_store_dword off, v0, s2
	v_mov_b64_e32 v[0:1], v[32:33]
	v_mov_b64_e32 v[2:3], v[34:35]
	;; [unrolled: 1-line block ×16, first 2 shown]
	s_branch .LBB1_11
.LBB1_60:
	s_movk_i32 s0, 0x18d
	v_mul_lo_u32 v0, v76, s0
	v_readlane_b32 s0, v100, 0
	v_ashrrev_i32_e32 v1, 31, v0
	v_readlane_b32 s1, v100, 1
	s_mov_b32 s2, 0
	s_nop 0
	v_lshl_add_u64 v[0:1], v[0:1], 2, s[0:1]
	s_mov_b64 s[0:1], 0x88
	v_lshl_add_u64 v[2:3], v[0:1], 0, s[0:1]
	s_mov_b64 s[0:1], 0x90
.LBB1_61:                               ; =>This Inner Loop Header: Depth=1
	s_add_i32 s3, s2, 0xd60
	s_add_i32 s4, s3, 16
	;; [unrolled: 1-line block ×9, first 2 shown]
	scratch_load_dwordx4 v[4:7], off, s3
	scratch_load_dwordx4 v[8:11], off, s4
	;; [unrolled: 1-line block ×9, first 2 shown]
	s_addk_i32 s2, 0x90
	s_cmpk_eq_i32 s2, 0x630
	s_waitcnt vmcnt(8)
	global_store_dwordx4 v[2:3], v[4:7], off offset:-136
	s_waitcnt vmcnt(8)
	global_store_dwordx4 v[2:3], v[8:11], off offset:-120
	;; [unrolled: 2-line block ×9, first 2 shown]
	v_lshl_add_u64 v[2:3], v[2:3], 0, s[0:1]
	s_cbranch_scc0 .LBB1_61
; %bb.62:
	v_readlane_b32 s0, v100, 2
	s_nop 4
	scratch_load_dword v2, off, s0
	s_waitcnt vmcnt(0)
	global_store_dword v[0:1], v2, off offset:1584
	s_endpgm
	.section	.rodata,"a",@progbits
	.p2align	6, 0x0
	.amdhsa_kernel _Z6decodePKfPKiPKjPi
		.amdhsa_group_segment_fixed_size 2704
		.amdhsa_private_segment_fixed_size 5152
		.amdhsa_kernarg_size 288
		.amdhsa_user_sgpr_count 2
		.amdhsa_user_sgpr_dispatch_ptr 0
		.amdhsa_user_sgpr_queue_ptr 0
		.amdhsa_user_sgpr_kernarg_segment_ptr 1
		.amdhsa_user_sgpr_dispatch_id 0
		.amdhsa_user_sgpr_kernarg_preload_length 0
		.amdhsa_user_sgpr_kernarg_preload_offset 0
		.amdhsa_user_sgpr_private_segment_size 0
		.amdhsa_uses_dynamic_stack 0
		.amdhsa_enable_private_segment 1
		.amdhsa_system_sgpr_workgroup_id_x 1
		.amdhsa_system_sgpr_workgroup_id_y 0
		.amdhsa_system_sgpr_workgroup_id_z 0
		.amdhsa_system_sgpr_workgroup_info 0
		.amdhsa_system_vgpr_workitem_id 0
		.amdhsa_next_free_vgpr 101
		.amdhsa_next_free_sgpr 100
		.amdhsa_accum_offset 104
		.amdhsa_reserve_vcc 1
		.amdhsa_float_round_mode_32 0
		.amdhsa_float_round_mode_16_64 0
		.amdhsa_float_denorm_mode_32 3
		.amdhsa_float_denorm_mode_16_64 3
		.amdhsa_dx10_clamp 1
		.amdhsa_ieee_mode 1
		.amdhsa_fp16_overflow 0
		.amdhsa_tg_split 0
		.amdhsa_exception_fp_ieee_invalid_op 0
		.amdhsa_exception_fp_denorm_src 0
		.amdhsa_exception_fp_ieee_div_zero 0
		.amdhsa_exception_fp_ieee_overflow 0
		.amdhsa_exception_fp_ieee_underflow 0
		.amdhsa_exception_fp_ieee_inexact 0
		.amdhsa_exception_int_div_zero 0
	.end_amdhsa_kernel
	.text
.Lfunc_end1:
	.size	_Z6decodePKfPKiPKjPi, .Lfunc_end1-_Z6decodePKfPKiPKjPi
                                        ; -- End function
	.set _Z6decodePKfPKiPKjPi.num_vgpr, 101
	.set _Z6decodePKfPKiPKjPi.num_agpr, 0
	.set _Z6decodePKfPKiPKjPi.numbered_sgpr, 100
	.set _Z6decodePKfPKiPKjPi.num_named_barrier, 0
	.set _Z6decodePKfPKiPKjPi.private_seg_size, 5152
	.set _Z6decodePKfPKiPKjPi.uses_vcc, 1
	.set _Z6decodePKfPKiPKjPi.uses_flat_scratch, 0
	.set _Z6decodePKfPKiPKjPi.has_dyn_sized_stack, 0
	.set _Z6decodePKfPKiPKjPi.has_recursion, 0
	.set _Z6decodePKfPKiPKjPi.has_indirect_call, 0
	.section	.AMDGPU.csdata,"",@progbits
; Kernel info:
; codeLenInByte = 19848
; TotalNumSgprs: 106
; NumVgprs: 101
; NumAgprs: 0
; TotalNumVgprs: 101
; ScratchSize: 5152
; MemoryBound: 0
; FloatMode: 240
; IeeeMode: 1
; LDSByteSize: 2704 bytes/workgroup (compile time only)
; SGPRBlocks: 13
; VGPRBlocks: 12
; NumSGPRsForWavesPerEU: 106
; NumVGPRsForWavesPerEU: 101
; AccumOffset: 104
; Occupancy: 4
; WaveLimiterHint : 0
; COMPUTE_PGM_RSRC2:SCRATCH_EN: 1
; COMPUTE_PGM_RSRC2:USER_SGPR: 2
; COMPUTE_PGM_RSRC2:TRAP_HANDLER: 0
; COMPUTE_PGM_RSRC2:TGID_X_EN: 1
; COMPUTE_PGM_RSRC2:TGID_Y_EN: 0
; COMPUTE_PGM_RSRC2:TGID_Z_EN: 0
; COMPUTE_PGM_RSRC2:TIDIG_COMP_CNT: 0
; COMPUTE_PGM_RSRC3_GFX90A:ACCUM_OFFSET: 25
; COMPUTE_PGM_RSRC3_GFX90A:TG_SPLIT: 0
	.text
	.p2alignl 6, 3212836864
	.fill 256, 4, 3212836864
	.section	.AMDGPU.gpr_maximums,"",@progbits
	.set amdgpu.max_num_vgpr, 0
	.set amdgpu.max_num_agpr, 0
	.set amdgpu.max_num_sgpr, 0
	.text
	.type	__hip_cuid_b5e7c07885cd113d,@object ; @__hip_cuid_b5e7c07885cd113d
	.section	.bss,"aw",@nobits
	.globl	__hip_cuid_b5e7c07885cd113d
__hip_cuid_b5e7c07885cd113d:
	.byte	0                               ; 0x0
	.size	__hip_cuid_b5e7c07885cd113d, 1

	.ident	"AMD clang version 22.0.0git (https://github.com/RadeonOpenCompute/llvm-project roc-7.2.4 26084 f58b06dce1f9c15707c5f808fd002e18c2accf7e)"
	.section	".note.GNU-stack","",@progbits
	.addrsig
	.addrsig_sym __hip_cuid_b5e7c07885cd113d
	.amdgpu_metadata
---
amdhsa.kernels:
  - .agpr_count:     0
    .args:
      - .address_space:  global
        .offset:         0
        .size:           8
        .value_kind:     global_buffer
      - .offset:         8
        .size:           4
        .value_kind:     hidden_block_count_x
      - .offset:         12
        .size:           4
        .value_kind:     hidden_block_count_y
      - .offset:         16
        .size:           4
        .value_kind:     hidden_block_count_z
      - .offset:         20
        .size:           2
        .value_kind:     hidden_group_size_x
      - .offset:         22
        .size:           2
        .value_kind:     hidden_group_size_y
      - .offset:         24
        .size:           2
        .value_kind:     hidden_group_size_z
      - .offset:         26
        .size:           2
        .value_kind:     hidden_remainder_x
      - .offset:         28
        .size:           2
        .value_kind:     hidden_remainder_y
      - .offset:         30
        .size:           2
        .value_kind:     hidden_remainder_z
      - .offset:         48
        .size:           8
        .value_kind:     hidden_global_offset_x
      - .offset:         56
        .size:           8
        .value_kind:     hidden_global_offset_y
      - .offset:         64
        .size:           8
        .value_kind:     hidden_global_offset_z
      - .offset:         72
        .size:           2
        .value_kind:     hidden_grid_dims
    .group_segment_fixed_size: 0
    .kernarg_segment_align: 8
    .kernarg_segment_size: 264
    .language:       OpenCL C
    .language_version:
      - 2
      - 0
    .max_flat_workgroup_size: 1024
    .name:           _Z11setupKernelPj
    .private_segment_fixed_size: 0
    .sgpr_count:     12
    .sgpr_spill_count: 0
    .symbol:         _Z11setupKernelPj.kd
    .uniform_work_group_size: 1
    .uses_dynamic_stack: false
    .vgpr_count:     6
    .vgpr_spill_count: 0
    .wavefront_size: 64
  - .agpr_count:     0
    .args:
      - .actual_access:  read_only
        .address_space:  global
        .offset:         0
        .size:           8
        .value_kind:     global_buffer
      - .actual_access:  read_only
        .address_space:  global
        .offset:         8
        .size:           8
        .value_kind:     global_buffer
      - .actual_access:  read_only
        .address_space:  global
        .offset:         16
        .size:           8
        .value_kind:     global_buffer
      - .actual_access:  write_only
        .address_space:  global
        .offset:         24
        .size:           8
        .value_kind:     global_buffer
      - .offset:         32
        .size:           4
        .value_kind:     hidden_block_count_x
      - .offset:         36
        .size:           4
        .value_kind:     hidden_block_count_y
      - .offset:         40
        .size:           4
        .value_kind:     hidden_block_count_z
      - .offset:         44
        .size:           2
        .value_kind:     hidden_group_size_x
      - .offset:         46
        .size:           2
        .value_kind:     hidden_group_size_y
      - .offset:         48
        .size:           2
        .value_kind:     hidden_group_size_z
      - .offset:         50
        .size:           2
        .value_kind:     hidden_remainder_x
      - .offset:         52
        .size:           2
        .value_kind:     hidden_remainder_y
      - .offset:         54
        .size:           2
        .value_kind:     hidden_remainder_z
      - .offset:         72
        .size:           8
        .value_kind:     hidden_global_offset_x
      - .offset:         80
        .size:           8
        .value_kind:     hidden_global_offset_y
      - .offset:         88
        .size:           8
        .value_kind:     hidden_global_offset_z
      - .offset:         96
        .size:           2
        .value_kind:     hidden_grid_dims
    .group_segment_fixed_size: 2704
    .kernarg_segment_align: 8
    .kernarg_segment_size: 288
    .language:       OpenCL C
    .language_version:
      - 2
      - 0
    .max_flat_workgroup_size: 1024
    .name:           _Z6decodePKfPKiPKjPi
    .private_segment_fixed_size: 5152
    .sgpr_count:     106
    .sgpr_spill_count: 109
    .symbol:         _Z6decodePKfPKiPKjPi.kd
    .uniform_work_group_size: 1
    .uses_dynamic_stack: false
    .vgpr_count:     101
    .vgpr_spill_count: 0
    .wavefront_size: 64
amdhsa.target:   amdgcn-amd-amdhsa--gfx950
amdhsa.version:
  - 1
  - 2
...

	.end_amdgpu_metadata
